;; amdgpu-corpus repo=ROCm/rocSPARSE kind=compiled arch=gfx1100 opt=O3
	.text
	.amdgcn_target "amdgcn-amd-amdhsa--gfx1100"
	.amdhsa_code_object_version 6
	.section	.text._ZN9rocsparseL12ell2csr_fillILj256EfiiEEvT2_S1_S1_PKS1_PKT0_21rocsparse_index_base_PKT1_PS1_PS4_S7_,"axG",@progbits,_ZN9rocsparseL12ell2csr_fillILj256EfiiEEvT2_S1_S1_PKS1_PKT0_21rocsparse_index_base_PKT1_PS1_PS4_S7_,comdat
	.globl	_ZN9rocsparseL12ell2csr_fillILj256EfiiEEvT2_S1_S1_PKS1_PKT0_21rocsparse_index_base_PKT1_PS1_PS4_S7_ ; -- Begin function _ZN9rocsparseL12ell2csr_fillILj256EfiiEEvT2_S1_S1_PKS1_PKT0_21rocsparse_index_base_PKT1_PS1_PS4_S7_
	.p2align	8
	.type	_ZN9rocsparseL12ell2csr_fillILj256EfiiEEvT2_S1_S1_PKS1_PKT0_21rocsparse_index_base_PKT1_PS1_PS4_S7_,@function
_ZN9rocsparseL12ell2csr_fillILj256EfiiEEvT2_S1_S1_PKS1_PKT0_21rocsparse_index_base_PKT1_PS1_PS4_S7_: ; @_ZN9rocsparseL12ell2csr_fillILj256EfiiEEvT2_S1_S1_PKS1_PKT0_21rocsparse_index_base_PKT1_PS1_PS4_S7_
; %bb.0:
	s_load_b128 s[4:7], s[0:1], 0x0
	v_lshl_or_b32 v0, s15, 8, v0
	s_waitcnt lgkmcnt(0)
	s_mov_b32 s7, 0
	s_delay_alu instid0(VALU_DEP_1) | instskip(SKIP_2) | instid1(SALU_CYCLE_1)
	v_cmp_gt_i32_e32 vcc_lo, s4, v0
	s_cmp_gt_i32 s6, 0
	s_cselect_b32 s2, -1, 0
	s_and_b32 s2, vcc_lo, s2
	s_delay_alu instid0(SALU_CYCLE_1)
	s_and_saveexec_b32 s3, s2
	s_cbranch_execz .LBB0_5
; %bb.1:
	s_clause 0x1
	s_load_b128 s[8:11], s[0:1], 0x28
	s_load_b64 s[2:3], s[0:1], 0x38
	v_ashrrev_i32_e32 v1, 31, v0
	s_add_i32 s6, s6, -1
	s_delay_alu instid0(VALU_DEP_1) | instskip(SKIP_1) | instid1(VALU_DEP_1)
	v_lshlrev_b64 v[1:2], 2, v[0:1]
	s_waitcnt lgkmcnt(0)
	v_add_co_u32 v1, vcc_lo, s8, v1
	s_delay_alu instid0(VALU_DEP_2)
	v_add_co_ci_u32_e32 v2, vcc_lo, s9, v2, vcc_lo
	global_load_b32 v1, v[1:2], off
	s_clause 0x2
	s_load_b32 s8, s[0:1], 0x40
	s_load_b128 s[12:15], s[0:1], 0x10
	s_load_b32 s1, s[0:1], 0x20
	s_waitcnt vmcnt(0) lgkmcnt(0)
	v_subrev_nc_u32_e32 v2, s8, v1
	s_set_inst_prefetch_distance 0x1
	s_branch .LBB0_3
	.p2align	6
.LBB0_2:                                ;   in Loop: Header=BB0_3 Depth=1
	s_or_b32 exec_lo, exec_lo, s9
	s_cmp_eq_u32 s6, 0
	v_add_nc_u32_e32 v0, s4, v0
	s_cselect_b32 s9, -1, 0
	s_add_i32 s6, s6, -1
	s_or_b32 s0, s0, s9
	s_delay_alu instid0(SALU_CYCLE_1) | instskip(NEXT) | instid1(SALU_CYCLE_1)
	s_and_b32 s0, exec_lo, s0
	s_or_b32 s7, s0, s7
	s_delay_alu instid0(SALU_CYCLE_1)
	s_and_not1_b32 exec_lo, exec_lo, s7
	s_cbranch_execz .LBB0_5
.LBB0_3:                                ; =>This Inner Loop Header: Depth=1
	v_ashrrev_i32_e32 v1, 31, v0
	s_delay_alu instid0(VALU_DEP_1) | instskip(NEXT) | instid1(VALU_DEP_1)
	v_lshlrev_b64 v[3:4], 2, v[0:1]
	v_add_co_u32 v5, vcc_lo, s12, v3
	s_delay_alu instid0(VALU_DEP_2) | instskip(SKIP_3) | instid1(VALU_DEP_1)
	v_add_co_ci_u32_e32 v6, vcc_lo, s13, v4, vcc_lo
	global_load_b32 v1, v[5:6], off
	s_waitcnt vmcnt(0)
	v_subrev_nc_u32_e32 v1, s1, v1
	v_cmp_gt_i32_e32 vcc_lo, 0, v1
	v_cmp_le_i32_e64 s0, s5, v1
	s_delay_alu instid0(VALU_DEP_1) | instskip(NEXT) | instid1(SALU_CYCLE_1)
	s_or_b32 s0, vcc_lo, s0
	s_xor_b32 s16, s0, -1
	s_delay_alu instid0(SALU_CYCLE_1)
	s_and_saveexec_b32 s9, s16
	s_cbranch_execz .LBB0_2
; %bb.4:                                ;   in Loop: Header=BB0_3 Depth=1
	v_add_co_u32 v3, vcc_lo, s14, v3
	v_add_co_ci_u32_e32 v4, vcc_lo, s15, v4, vcc_lo
	v_add_nc_u32_e32 v1, s8, v1
	global_load_b32 v7, v[3:4], off
	v_ashrrev_i32_e32 v3, 31, v2
	s_delay_alu instid0(VALU_DEP_1) | instskip(SKIP_1) | instid1(VALU_DEP_2)
	v_lshlrev_b64 v[3:4], 2, v[2:3]
	v_add_nc_u32_e32 v2, 1, v2
	v_add_co_u32 v5, vcc_lo, s10, v3
	s_delay_alu instid0(VALU_DEP_3)
	v_add_co_ci_u32_e32 v6, vcc_lo, s11, v4, vcc_lo
	v_add_co_u32 v3, vcc_lo, s2, v3
	v_add_co_ci_u32_e32 v4, vcc_lo, s3, v4, vcc_lo
	global_store_b32 v[5:6], v1, off
	s_waitcnt vmcnt(0)
	global_store_b32 v[3:4], v7, off
	s_branch .LBB0_2
.LBB0_5:
	s_set_inst_prefetch_distance 0x2
	s_nop 0
	s_sendmsg sendmsg(MSG_DEALLOC_VGPRS)
	s_endpgm
	.section	.rodata,"a",@progbits
	.p2align	6, 0x0
	.amdhsa_kernel _ZN9rocsparseL12ell2csr_fillILj256EfiiEEvT2_S1_S1_PKS1_PKT0_21rocsparse_index_base_PKT1_PS1_PS4_S7_
		.amdhsa_group_segment_fixed_size 0
		.amdhsa_private_segment_fixed_size 0
		.amdhsa_kernarg_size 68
		.amdhsa_user_sgpr_count 15
		.amdhsa_user_sgpr_dispatch_ptr 0
		.amdhsa_user_sgpr_queue_ptr 0
		.amdhsa_user_sgpr_kernarg_segment_ptr 1
		.amdhsa_user_sgpr_dispatch_id 0
		.amdhsa_user_sgpr_private_segment_size 0
		.amdhsa_wavefront_size32 1
		.amdhsa_uses_dynamic_stack 0
		.amdhsa_enable_private_segment 0
		.amdhsa_system_sgpr_workgroup_id_x 1
		.amdhsa_system_sgpr_workgroup_id_y 0
		.amdhsa_system_sgpr_workgroup_id_z 0
		.amdhsa_system_sgpr_workgroup_info 0
		.amdhsa_system_vgpr_workitem_id 0
		.amdhsa_next_free_vgpr 8
		.amdhsa_next_free_sgpr 17
		.amdhsa_reserve_vcc 1
		.amdhsa_float_round_mode_32 0
		.amdhsa_float_round_mode_16_64 0
		.amdhsa_float_denorm_mode_32 3
		.amdhsa_float_denorm_mode_16_64 3
		.amdhsa_dx10_clamp 1
		.amdhsa_ieee_mode 1
		.amdhsa_fp16_overflow 0
		.amdhsa_workgroup_processor_mode 1
		.amdhsa_memory_ordered 1
		.amdhsa_forward_progress 0
		.amdhsa_shared_vgpr_count 0
		.amdhsa_exception_fp_ieee_invalid_op 0
		.amdhsa_exception_fp_denorm_src 0
		.amdhsa_exception_fp_ieee_div_zero 0
		.amdhsa_exception_fp_ieee_overflow 0
		.amdhsa_exception_fp_ieee_underflow 0
		.amdhsa_exception_fp_ieee_inexact 0
		.amdhsa_exception_int_div_zero 0
	.end_amdhsa_kernel
	.section	.text._ZN9rocsparseL12ell2csr_fillILj256EfiiEEvT2_S1_S1_PKS1_PKT0_21rocsparse_index_base_PKT1_PS1_PS4_S7_,"axG",@progbits,_ZN9rocsparseL12ell2csr_fillILj256EfiiEEvT2_S1_S1_PKS1_PKT0_21rocsparse_index_base_PKT1_PS1_PS4_S7_,comdat
.Lfunc_end0:
	.size	_ZN9rocsparseL12ell2csr_fillILj256EfiiEEvT2_S1_S1_PKS1_PKT0_21rocsparse_index_base_PKT1_PS1_PS4_S7_, .Lfunc_end0-_ZN9rocsparseL12ell2csr_fillILj256EfiiEEvT2_S1_S1_PKS1_PKT0_21rocsparse_index_base_PKT1_PS1_PS4_S7_
                                        ; -- End function
	.section	.AMDGPU.csdata,"",@progbits
; Kernel info:
; codeLenInByte = 412
; NumSgprs: 19
; NumVgprs: 8
; ScratchSize: 0
; MemoryBound: 0
; FloatMode: 240
; IeeeMode: 1
; LDSByteSize: 0 bytes/workgroup (compile time only)
; SGPRBlocks: 2
; VGPRBlocks: 0
; NumSGPRsForWavesPerEU: 19
; NumVGPRsForWavesPerEU: 8
; Occupancy: 16
; WaveLimiterHint : 0
; COMPUTE_PGM_RSRC2:SCRATCH_EN: 0
; COMPUTE_PGM_RSRC2:USER_SGPR: 15
; COMPUTE_PGM_RSRC2:TRAP_HANDLER: 0
; COMPUTE_PGM_RSRC2:TGID_X_EN: 1
; COMPUTE_PGM_RSRC2:TGID_Y_EN: 0
; COMPUTE_PGM_RSRC2:TGID_Z_EN: 0
; COMPUTE_PGM_RSRC2:TIDIG_COMP_CNT: 0
	.section	.text._ZN9rocsparseL12ell2csr_fillILj256E21rocsparse_complex_numIfEiiEEvT2_S3_S3_PKS3_PKT0_21rocsparse_index_base_PKT1_PS3_PS6_S9_,"axG",@progbits,_ZN9rocsparseL12ell2csr_fillILj256E21rocsparse_complex_numIfEiiEEvT2_S3_S3_PKS3_PKT0_21rocsparse_index_base_PKT1_PS3_PS6_S9_,comdat
	.globl	_ZN9rocsparseL12ell2csr_fillILj256E21rocsparse_complex_numIfEiiEEvT2_S3_S3_PKS3_PKT0_21rocsparse_index_base_PKT1_PS3_PS6_S9_ ; -- Begin function _ZN9rocsparseL12ell2csr_fillILj256E21rocsparse_complex_numIfEiiEEvT2_S3_S3_PKS3_PKT0_21rocsparse_index_base_PKT1_PS3_PS6_S9_
	.p2align	8
	.type	_ZN9rocsparseL12ell2csr_fillILj256E21rocsparse_complex_numIfEiiEEvT2_S3_S3_PKS3_PKT0_21rocsparse_index_base_PKT1_PS3_PS6_S9_,@function
_ZN9rocsparseL12ell2csr_fillILj256E21rocsparse_complex_numIfEiiEEvT2_S3_S3_PKS3_PKT0_21rocsparse_index_base_PKT1_PS3_PS6_S9_: ; @_ZN9rocsparseL12ell2csr_fillILj256E21rocsparse_complex_numIfEiiEEvT2_S3_S3_PKS3_PKT0_21rocsparse_index_base_PKT1_PS3_PS6_S9_
; %bb.0:
	s_load_b128 s[4:7], s[0:1], 0x0
	v_lshl_or_b32 v0, s15, 8, v0
	s_waitcnt lgkmcnt(0)
	s_mov_b32 s7, 0
	s_delay_alu instid0(VALU_DEP_1) | instskip(SKIP_2) | instid1(SALU_CYCLE_1)
	v_cmp_gt_i32_e32 vcc_lo, s4, v0
	s_cmp_gt_i32 s6, 0
	s_cselect_b32 s2, -1, 0
	s_and_b32 s2, vcc_lo, s2
	s_delay_alu instid0(SALU_CYCLE_1)
	s_and_saveexec_b32 s3, s2
	s_cbranch_execz .LBB1_5
; %bb.1:
	s_clause 0x1
	s_load_b128 s[8:11], s[0:1], 0x28
	s_load_b64 s[2:3], s[0:1], 0x38
	v_ashrrev_i32_e32 v1, 31, v0
	s_add_i32 s6, s6, -1
	s_delay_alu instid0(VALU_DEP_1) | instskip(SKIP_1) | instid1(VALU_DEP_1)
	v_lshlrev_b64 v[1:2], 2, v[0:1]
	s_waitcnt lgkmcnt(0)
	v_add_co_u32 v1, vcc_lo, s8, v1
	s_delay_alu instid0(VALU_DEP_2)
	v_add_co_ci_u32_e32 v2, vcc_lo, s9, v2, vcc_lo
	global_load_b32 v1, v[1:2], off
	s_clause 0x2
	s_load_b32 s8, s[0:1], 0x40
	s_load_b128 s[12:15], s[0:1], 0x10
	s_load_b32 s1, s[0:1], 0x20
	s_waitcnt vmcnt(0) lgkmcnt(0)
	v_subrev_nc_u32_e32 v2, s8, v1
	s_branch .LBB1_3
.LBB1_2:                                ;   in Loop: Header=BB1_3 Depth=1
	s_or_b32 exec_lo, exec_lo, s9
	s_cmp_eq_u32 s6, 0
	v_add_nc_u32_e32 v0, s4, v0
	s_cselect_b32 s9, -1, 0
	s_add_i32 s6, s6, -1
	s_or_b32 s0, s0, s9
	s_delay_alu instid0(SALU_CYCLE_1) | instskip(NEXT) | instid1(SALU_CYCLE_1)
	s_and_b32 s0, exec_lo, s0
	s_or_b32 s7, s0, s7
	s_delay_alu instid0(SALU_CYCLE_1)
	s_and_not1_b32 exec_lo, exec_lo, s7
	s_cbranch_execz .LBB1_5
.LBB1_3:                                ; =>This Inner Loop Header: Depth=1
	v_ashrrev_i32_e32 v1, 31, v0
	s_delay_alu instid0(VALU_DEP_1) | instskip(NEXT) | instid1(VALU_DEP_1)
	v_lshlrev_b64 v[3:4], 2, v[0:1]
	v_add_co_u32 v3, vcc_lo, s12, v3
	s_delay_alu instid0(VALU_DEP_2) | instskip(SKIP_3) | instid1(VALU_DEP_1)
	v_add_co_ci_u32_e32 v4, vcc_lo, s13, v4, vcc_lo
	global_load_b32 v3, v[3:4], off
	s_waitcnt vmcnt(0)
	v_subrev_nc_u32_e32 v4, s1, v3
	v_cmp_gt_i32_e32 vcc_lo, 0, v4
	v_cmp_le_i32_e64 s0, s5, v4
	s_delay_alu instid0(VALU_DEP_1) | instskip(NEXT) | instid1(SALU_CYCLE_1)
	s_or_b32 s0, vcc_lo, s0
	s_xor_b32 s16, s0, -1
	s_delay_alu instid0(SALU_CYCLE_1)
	s_and_saveexec_b32 s9, s16
	s_cbranch_execz .LBB1_2
; %bb.4:                                ;   in Loop: Header=BB1_3 Depth=1
	v_lshlrev_b64 v[5:6], 3, v[0:1]
	v_ashrrev_i32_e32 v3, 31, v2
	v_add_nc_u32_e32 v9, 1, v2
	v_add_nc_u32_e32 v10, s8, v4
	s_delay_alu instid0(VALU_DEP_3) | instskip(SKIP_3) | instid1(VALU_DEP_4)
	v_lshlrev_b64 v[7:8], 2, v[2:3]
	v_add_co_u32 v5, vcc_lo, s14, v5
	v_add_co_ci_u32_e32 v6, vcc_lo, s15, v6, vcc_lo
	v_lshlrev_b64 v[1:2], 3, v[2:3]
	v_add_co_u32 v7, vcc_lo, s10, v7
	global_load_b64 v[5:6], v[5:6], off
	v_add_co_ci_u32_e32 v8, vcc_lo, s11, v8, vcc_lo
	v_add_co_u32 v3, vcc_lo, s2, v1
	v_add_co_ci_u32_e32 v4, vcc_lo, s3, v2, vcc_lo
	v_mov_b32_e32 v2, v9
	global_store_b32 v[7:8], v10, off
	s_waitcnt vmcnt(0)
	global_store_b64 v[3:4], v[5:6], off
	s_branch .LBB1_2
.LBB1_5:
	s_nop 0
	s_sendmsg sendmsg(MSG_DEALLOC_VGPRS)
	s_endpgm
	.section	.rodata,"a",@progbits
	.p2align	6, 0x0
	.amdhsa_kernel _ZN9rocsparseL12ell2csr_fillILj256E21rocsparse_complex_numIfEiiEEvT2_S3_S3_PKS3_PKT0_21rocsparse_index_base_PKT1_PS3_PS6_S9_
		.amdhsa_group_segment_fixed_size 0
		.amdhsa_private_segment_fixed_size 0
		.amdhsa_kernarg_size 68
		.amdhsa_user_sgpr_count 15
		.amdhsa_user_sgpr_dispatch_ptr 0
		.amdhsa_user_sgpr_queue_ptr 0
		.amdhsa_user_sgpr_kernarg_segment_ptr 1
		.amdhsa_user_sgpr_dispatch_id 0
		.amdhsa_user_sgpr_private_segment_size 0
		.amdhsa_wavefront_size32 1
		.amdhsa_uses_dynamic_stack 0
		.amdhsa_enable_private_segment 0
		.amdhsa_system_sgpr_workgroup_id_x 1
		.amdhsa_system_sgpr_workgroup_id_y 0
		.amdhsa_system_sgpr_workgroup_id_z 0
		.amdhsa_system_sgpr_workgroup_info 0
		.amdhsa_system_vgpr_workitem_id 0
		.amdhsa_next_free_vgpr 11
		.amdhsa_next_free_sgpr 17
		.amdhsa_reserve_vcc 1
		.amdhsa_float_round_mode_32 0
		.amdhsa_float_round_mode_16_64 0
		.amdhsa_float_denorm_mode_32 3
		.amdhsa_float_denorm_mode_16_64 3
		.amdhsa_dx10_clamp 1
		.amdhsa_ieee_mode 1
		.amdhsa_fp16_overflow 0
		.amdhsa_workgroup_processor_mode 1
		.amdhsa_memory_ordered 1
		.amdhsa_forward_progress 0
		.amdhsa_shared_vgpr_count 0
		.amdhsa_exception_fp_ieee_invalid_op 0
		.amdhsa_exception_fp_denorm_src 0
		.amdhsa_exception_fp_ieee_div_zero 0
		.amdhsa_exception_fp_ieee_overflow 0
		.amdhsa_exception_fp_ieee_underflow 0
		.amdhsa_exception_fp_ieee_inexact 0
		.amdhsa_exception_int_div_zero 0
	.end_amdhsa_kernel
	.section	.text._ZN9rocsparseL12ell2csr_fillILj256E21rocsparse_complex_numIfEiiEEvT2_S3_S3_PKS3_PKT0_21rocsparse_index_base_PKT1_PS3_PS6_S9_,"axG",@progbits,_ZN9rocsparseL12ell2csr_fillILj256E21rocsparse_complex_numIfEiiEEvT2_S3_S3_PKS3_PKT0_21rocsparse_index_base_PKT1_PS3_PS6_S9_,comdat
.Lfunc_end1:
	.size	_ZN9rocsparseL12ell2csr_fillILj256E21rocsparse_complex_numIfEiiEEvT2_S3_S3_PKS3_PKT0_21rocsparse_index_base_PKT1_PS3_PS6_S9_, .Lfunc_end1-_ZN9rocsparseL12ell2csr_fillILj256E21rocsparse_complex_numIfEiiEEvT2_S3_S3_PKS3_PKT0_21rocsparse_index_base_PKT1_PS3_PS6_S9_
                                        ; -- End function
	.section	.AMDGPU.csdata,"",@progbits
; Kernel info:
; codeLenInByte = 420
; NumSgprs: 19
; NumVgprs: 11
; ScratchSize: 0
; MemoryBound: 0
; FloatMode: 240
; IeeeMode: 1
; LDSByteSize: 0 bytes/workgroup (compile time only)
; SGPRBlocks: 2
; VGPRBlocks: 1
; NumSGPRsForWavesPerEU: 19
; NumVGPRsForWavesPerEU: 11
; Occupancy: 16
; WaveLimiterHint : 0
; COMPUTE_PGM_RSRC2:SCRATCH_EN: 0
; COMPUTE_PGM_RSRC2:USER_SGPR: 15
; COMPUTE_PGM_RSRC2:TRAP_HANDLER: 0
; COMPUTE_PGM_RSRC2:TGID_X_EN: 1
; COMPUTE_PGM_RSRC2:TGID_Y_EN: 0
; COMPUTE_PGM_RSRC2:TGID_Z_EN: 0
; COMPUTE_PGM_RSRC2:TIDIG_COMP_CNT: 0
	.section	.text._ZN9rocsparseL12ell2csr_fillILj256EdiiEEvT2_S1_S1_PKS1_PKT0_21rocsparse_index_base_PKT1_PS1_PS4_S7_,"axG",@progbits,_ZN9rocsparseL12ell2csr_fillILj256EdiiEEvT2_S1_S1_PKS1_PKT0_21rocsparse_index_base_PKT1_PS1_PS4_S7_,comdat
	.globl	_ZN9rocsparseL12ell2csr_fillILj256EdiiEEvT2_S1_S1_PKS1_PKT0_21rocsparse_index_base_PKT1_PS1_PS4_S7_ ; -- Begin function _ZN9rocsparseL12ell2csr_fillILj256EdiiEEvT2_S1_S1_PKS1_PKT0_21rocsparse_index_base_PKT1_PS1_PS4_S7_
	.p2align	8
	.type	_ZN9rocsparseL12ell2csr_fillILj256EdiiEEvT2_S1_S1_PKS1_PKT0_21rocsparse_index_base_PKT1_PS1_PS4_S7_,@function
_ZN9rocsparseL12ell2csr_fillILj256EdiiEEvT2_S1_S1_PKS1_PKT0_21rocsparse_index_base_PKT1_PS1_PS4_S7_: ; @_ZN9rocsparseL12ell2csr_fillILj256EdiiEEvT2_S1_S1_PKS1_PKT0_21rocsparse_index_base_PKT1_PS1_PS4_S7_
; %bb.0:
	s_load_b128 s[4:7], s[0:1], 0x0
	v_lshl_or_b32 v0, s15, 8, v0
	s_waitcnt lgkmcnt(0)
	s_mov_b32 s7, 0
	s_delay_alu instid0(VALU_DEP_1) | instskip(SKIP_2) | instid1(SALU_CYCLE_1)
	v_cmp_gt_i32_e32 vcc_lo, s4, v0
	s_cmp_gt_i32 s6, 0
	s_cselect_b32 s2, -1, 0
	s_and_b32 s2, vcc_lo, s2
	s_delay_alu instid0(SALU_CYCLE_1)
	s_and_saveexec_b32 s3, s2
	s_cbranch_execz .LBB2_5
; %bb.1:
	s_clause 0x1
	s_load_b128 s[8:11], s[0:1], 0x28
	s_load_b64 s[2:3], s[0:1], 0x38
	v_ashrrev_i32_e32 v1, 31, v0
	s_add_i32 s6, s6, -1
	s_delay_alu instid0(VALU_DEP_1) | instskip(SKIP_1) | instid1(VALU_DEP_1)
	v_lshlrev_b64 v[1:2], 2, v[0:1]
	s_waitcnt lgkmcnt(0)
	v_add_co_u32 v1, vcc_lo, s8, v1
	s_delay_alu instid0(VALU_DEP_2)
	v_add_co_ci_u32_e32 v2, vcc_lo, s9, v2, vcc_lo
	global_load_b32 v1, v[1:2], off
	s_clause 0x2
	s_load_b32 s8, s[0:1], 0x40
	s_load_b128 s[12:15], s[0:1], 0x10
	s_load_b32 s1, s[0:1], 0x20
	s_waitcnt vmcnt(0) lgkmcnt(0)
	v_subrev_nc_u32_e32 v2, s8, v1
	s_branch .LBB2_3
.LBB2_2:                                ;   in Loop: Header=BB2_3 Depth=1
	s_or_b32 exec_lo, exec_lo, s9
	s_cmp_eq_u32 s6, 0
	v_add_nc_u32_e32 v0, s4, v0
	s_cselect_b32 s9, -1, 0
	s_add_i32 s6, s6, -1
	s_or_b32 s0, s0, s9
	s_delay_alu instid0(SALU_CYCLE_1) | instskip(NEXT) | instid1(SALU_CYCLE_1)
	s_and_b32 s0, exec_lo, s0
	s_or_b32 s7, s0, s7
	s_delay_alu instid0(SALU_CYCLE_1)
	s_and_not1_b32 exec_lo, exec_lo, s7
	s_cbranch_execz .LBB2_5
.LBB2_3:                                ; =>This Inner Loop Header: Depth=1
	v_ashrrev_i32_e32 v1, 31, v0
	s_delay_alu instid0(VALU_DEP_1) | instskip(NEXT) | instid1(VALU_DEP_1)
	v_lshlrev_b64 v[3:4], 2, v[0:1]
	v_add_co_u32 v3, vcc_lo, s12, v3
	s_delay_alu instid0(VALU_DEP_2) | instskip(SKIP_3) | instid1(VALU_DEP_1)
	v_add_co_ci_u32_e32 v4, vcc_lo, s13, v4, vcc_lo
	global_load_b32 v3, v[3:4], off
	s_waitcnt vmcnt(0)
	v_subrev_nc_u32_e32 v4, s1, v3
	v_cmp_gt_i32_e32 vcc_lo, 0, v4
	v_cmp_le_i32_e64 s0, s5, v4
	s_delay_alu instid0(VALU_DEP_1) | instskip(NEXT) | instid1(SALU_CYCLE_1)
	s_or_b32 s0, vcc_lo, s0
	s_xor_b32 s16, s0, -1
	s_delay_alu instid0(SALU_CYCLE_1)
	s_and_saveexec_b32 s9, s16
	s_cbranch_execz .LBB2_2
; %bb.4:                                ;   in Loop: Header=BB2_3 Depth=1
	v_lshlrev_b64 v[5:6], 3, v[0:1]
	v_ashrrev_i32_e32 v3, 31, v2
	v_add_nc_u32_e32 v9, 1, v2
	v_add_nc_u32_e32 v10, s8, v4
	s_delay_alu instid0(VALU_DEP_3) | instskip(SKIP_3) | instid1(VALU_DEP_4)
	v_lshlrev_b64 v[7:8], 2, v[2:3]
	v_add_co_u32 v5, vcc_lo, s14, v5
	v_add_co_ci_u32_e32 v6, vcc_lo, s15, v6, vcc_lo
	v_lshlrev_b64 v[1:2], 3, v[2:3]
	v_add_co_u32 v7, vcc_lo, s10, v7
	global_load_b64 v[5:6], v[5:6], off
	v_add_co_ci_u32_e32 v8, vcc_lo, s11, v8, vcc_lo
	v_add_co_u32 v3, vcc_lo, s2, v1
	v_add_co_ci_u32_e32 v4, vcc_lo, s3, v2, vcc_lo
	v_mov_b32_e32 v2, v9
	global_store_b32 v[7:8], v10, off
	s_waitcnt vmcnt(0)
	global_store_b64 v[3:4], v[5:6], off
	s_branch .LBB2_2
.LBB2_5:
	s_nop 0
	s_sendmsg sendmsg(MSG_DEALLOC_VGPRS)
	s_endpgm
	.section	.rodata,"a",@progbits
	.p2align	6, 0x0
	.amdhsa_kernel _ZN9rocsparseL12ell2csr_fillILj256EdiiEEvT2_S1_S1_PKS1_PKT0_21rocsparse_index_base_PKT1_PS1_PS4_S7_
		.amdhsa_group_segment_fixed_size 0
		.amdhsa_private_segment_fixed_size 0
		.amdhsa_kernarg_size 68
		.amdhsa_user_sgpr_count 15
		.amdhsa_user_sgpr_dispatch_ptr 0
		.amdhsa_user_sgpr_queue_ptr 0
		.amdhsa_user_sgpr_kernarg_segment_ptr 1
		.amdhsa_user_sgpr_dispatch_id 0
		.amdhsa_user_sgpr_private_segment_size 0
		.amdhsa_wavefront_size32 1
		.amdhsa_uses_dynamic_stack 0
		.amdhsa_enable_private_segment 0
		.amdhsa_system_sgpr_workgroup_id_x 1
		.amdhsa_system_sgpr_workgroup_id_y 0
		.amdhsa_system_sgpr_workgroup_id_z 0
		.amdhsa_system_sgpr_workgroup_info 0
		.amdhsa_system_vgpr_workitem_id 0
		.amdhsa_next_free_vgpr 11
		.amdhsa_next_free_sgpr 17
		.amdhsa_reserve_vcc 1
		.amdhsa_float_round_mode_32 0
		.amdhsa_float_round_mode_16_64 0
		.amdhsa_float_denorm_mode_32 3
		.amdhsa_float_denorm_mode_16_64 3
		.amdhsa_dx10_clamp 1
		.amdhsa_ieee_mode 1
		.amdhsa_fp16_overflow 0
		.amdhsa_workgroup_processor_mode 1
		.amdhsa_memory_ordered 1
		.amdhsa_forward_progress 0
		.amdhsa_shared_vgpr_count 0
		.amdhsa_exception_fp_ieee_invalid_op 0
		.amdhsa_exception_fp_denorm_src 0
		.amdhsa_exception_fp_ieee_div_zero 0
		.amdhsa_exception_fp_ieee_overflow 0
		.amdhsa_exception_fp_ieee_underflow 0
		.amdhsa_exception_fp_ieee_inexact 0
		.amdhsa_exception_int_div_zero 0
	.end_amdhsa_kernel
	.section	.text._ZN9rocsparseL12ell2csr_fillILj256EdiiEEvT2_S1_S1_PKS1_PKT0_21rocsparse_index_base_PKT1_PS1_PS4_S7_,"axG",@progbits,_ZN9rocsparseL12ell2csr_fillILj256EdiiEEvT2_S1_S1_PKS1_PKT0_21rocsparse_index_base_PKT1_PS1_PS4_S7_,comdat
.Lfunc_end2:
	.size	_ZN9rocsparseL12ell2csr_fillILj256EdiiEEvT2_S1_S1_PKS1_PKT0_21rocsparse_index_base_PKT1_PS1_PS4_S7_, .Lfunc_end2-_ZN9rocsparseL12ell2csr_fillILj256EdiiEEvT2_S1_S1_PKS1_PKT0_21rocsparse_index_base_PKT1_PS1_PS4_S7_
                                        ; -- End function
	.section	.AMDGPU.csdata,"",@progbits
; Kernel info:
; codeLenInByte = 420
; NumSgprs: 19
; NumVgprs: 11
; ScratchSize: 0
; MemoryBound: 0
; FloatMode: 240
; IeeeMode: 1
; LDSByteSize: 0 bytes/workgroup (compile time only)
; SGPRBlocks: 2
; VGPRBlocks: 1
; NumSGPRsForWavesPerEU: 19
; NumVGPRsForWavesPerEU: 11
; Occupancy: 16
; WaveLimiterHint : 0
; COMPUTE_PGM_RSRC2:SCRATCH_EN: 0
; COMPUTE_PGM_RSRC2:USER_SGPR: 15
; COMPUTE_PGM_RSRC2:TRAP_HANDLER: 0
; COMPUTE_PGM_RSRC2:TGID_X_EN: 1
; COMPUTE_PGM_RSRC2:TGID_Y_EN: 0
; COMPUTE_PGM_RSRC2:TGID_Z_EN: 0
; COMPUTE_PGM_RSRC2:TIDIG_COMP_CNT: 0
	.section	.text._ZN9rocsparseL12ell2csr_fillILj256E21rocsparse_complex_numIdEiiEEvT2_S3_S3_PKS3_PKT0_21rocsparse_index_base_PKT1_PS3_PS6_S9_,"axG",@progbits,_ZN9rocsparseL12ell2csr_fillILj256E21rocsparse_complex_numIdEiiEEvT2_S3_S3_PKS3_PKT0_21rocsparse_index_base_PKT1_PS3_PS6_S9_,comdat
	.globl	_ZN9rocsparseL12ell2csr_fillILj256E21rocsparse_complex_numIdEiiEEvT2_S3_S3_PKS3_PKT0_21rocsparse_index_base_PKT1_PS3_PS6_S9_ ; -- Begin function _ZN9rocsparseL12ell2csr_fillILj256E21rocsparse_complex_numIdEiiEEvT2_S3_S3_PKS3_PKT0_21rocsparse_index_base_PKT1_PS3_PS6_S9_
	.p2align	8
	.type	_ZN9rocsparseL12ell2csr_fillILj256E21rocsparse_complex_numIdEiiEEvT2_S3_S3_PKS3_PKT0_21rocsparse_index_base_PKT1_PS3_PS6_S9_,@function
_ZN9rocsparseL12ell2csr_fillILj256E21rocsparse_complex_numIdEiiEEvT2_S3_S3_PKS3_PKT0_21rocsparse_index_base_PKT1_PS3_PS6_S9_: ; @_ZN9rocsparseL12ell2csr_fillILj256E21rocsparse_complex_numIdEiiEEvT2_S3_S3_PKS3_PKT0_21rocsparse_index_base_PKT1_PS3_PS6_S9_
; %bb.0:
	s_load_b128 s[4:7], s[0:1], 0x0
	v_lshl_or_b32 v0, s15, 8, v0
	s_waitcnt lgkmcnt(0)
	s_mov_b32 s7, 0
	s_delay_alu instid0(VALU_DEP_1) | instskip(SKIP_2) | instid1(SALU_CYCLE_1)
	v_cmp_gt_i32_e32 vcc_lo, s4, v0
	s_cmp_gt_i32 s6, 0
	s_cselect_b32 s2, -1, 0
	s_and_b32 s2, vcc_lo, s2
	s_delay_alu instid0(SALU_CYCLE_1)
	s_and_saveexec_b32 s3, s2
	s_cbranch_execz .LBB3_5
; %bb.1:
	s_clause 0x1
	s_load_b128 s[8:11], s[0:1], 0x28
	s_load_b64 s[2:3], s[0:1], 0x38
	v_ashrrev_i32_e32 v1, 31, v0
	s_add_i32 s6, s6, -1
	s_delay_alu instid0(VALU_DEP_1) | instskip(SKIP_1) | instid1(VALU_DEP_1)
	v_lshlrev_b64 v[1:2], 2, v[0:1]
	s_waitcnt lgkmcnt(0)
	v_add_co_u32 v1, vcc_lo, s8, v1
	s_delay_alu instid0(VALU_DEP_2)
	v_add_co_ci_u32_e32 v2, vcc_lo, s9, v2, vcc_lo
	global_load_b32 v1, v[1:2], off
	s_clause 0x2
	s_load_b32 s8, s[0:1], 0x40
	s_load_b128 s[12:15], s[0:1], 0x10
	s_load_b32 s1, s[0:1], 0x20
	s_waitcnt vmcnt(0) lgkmcnt(0)
	v_subrev_nc_u32_e32 v2, s8, v1
	s_branch .LBB3_3
.LBB3_2:                                ;   in Loop: Header=BB3_3 Depth=1
	s_or_b32 exec_lo, exec_lo, s9
	s_cmp_eq_u32 s6, 0
	v_add_nc_u32_e32 v0, s4, v0
	s_cselect_b32 s9, -1, 0
	s_add_i32 s6, s6, -1
	s_or_b32 s0, s0, s9
	s_delay_alu instid0(SALU_CYCLE_1) | instskip(NEXT) | instid1(SALU_CYCLE_1)
	s_and_b32 s0, exec_lo, s0
	s_or_b32 s7, s0, s7
	s_delay_alu instid0(SALU_CYCLE_1)
	s_and_not1_b32 exec_lo, exec_lo, s7
	s_cbranch_execz .LBB3_5
.LBB3_3:                                ; =>This Inner Loop Header: Depth=1
	v_ashrrev_i32_e32 v1, 31, v0
	s_delay_alu instid0(VALU_DEP_1) | instskip(NEXT) | instid1(VALU_DEP_1)
	v_lshlrev_b64 v[3:4], 2, v[0:1]
	v_add_co_u32 v3, vcc_lo, s12, v3
	s_delay_alu instid0(VALU_DEP_2) | instskip(SKIP_3) | instid1(VALU_DEP_1)
	v_add_co_ci_u32_e32 v4, vcc_lo, s13, v4, vcc_lo
	global_load_b32 v3, v[3:4], off
	s_waitcnt vmcnt(0)
	v_subrev_nc_u32_e32 v4, s1, v3
	v_cmp_gt_i32_e32 vcc_lo, 0, v4
	v_cmp_le_i32_e64 s0, s5, v4
	s_delay_alu instid0(VALU_DEP_1) | instskip(NEXT) | instid1(SALU_CYCLE_1)
	s_or_b32 s0, vcc_lo, s0
	s_xor_b32 s16, s0, -1
	s_delay_alu instid0(SALU_CYCLE_1)
	s_and_saveexec_b32 s9, s16
	s_cbranch_execz .LBB3_2
; %bb.4:                                ;   in Loop: Header=BB3_3 Depth=1
	v_lshlrev_b64 v[5:6], 4, v[0:1]
	v_ashrrev_i32_e32 v3, 31, v2
	v_add_nc_u32_e32 v11, 1, v2
	v_add_nc_u32_e32 v12, s8, v4
	s_delay_alu instid0(VALU_DEP_3) | instskip(SKIP_3) | instid1(VALU_DEP_4)
	v_lshlrev_b64 v[9:10], 2, v[2:3]
	v_add_co_u32 v5, vcc_lo, s14, v5
	v_add_co_ci_u32_e32 v6, vcc_lo, s15, v6, vcc_lo
	v_lshlrev_b64 v[1:2], 4, v[2:3]
	v_add_co_u32 v9, vcc_lo, s10, v9
	global_load_b128 v[5:8], v[5:6], off
	v_add_co_ci_u32_e32 v10, vcc_lo, s11, v10, vcc_lo
	v_add_co_u32 v3, vcc_lo, s2, v1
	v_add_co_ci_u32_e32 v4, vcc_lo, s3, v2, vcc_lo
	v_mov_b32_e32 v2, v11
	global_store_b32 v[9:10], v12, off
	s_waitcnt vmcnt(0)
	global_store_b128 v[3:4], v[5:8], off
	s_branch .LBB3_2
.LBB3_5:
	s_nop 0
	s_sendmsg sendmsg(MSG_DEALLOC_VGPRS)
	s_endpgm
	.section	.rodata,"a",@progbits
	.p2align	6, 0x0
	.amdhsa_kernel _ZN9rocsparseL12ell2csr_fillILj256E21rocsparse_complex_numIdEiiEEvT2_S3_S3_PKS3_PKT0_21rocsparse_index_base_PKT1_PS3_PS6_S9_
		.amdhsa_group_segment_fixed_size 0
		.amdhsa_private_segment_fixed_size 0
		.amdhsa_kernarg_size 68
		.amdhsa_user_sgpr_count 15
		.amdhsa_user_sgpr_dispatch_ptr 0
		.amdhsa_user_sgpr_queue_ptr 0
		.amdhsa_user_sgpr_kernarg_segment_ptr 1
		.amdhsa_user_sgpr_dispatch_id 0
		.amdhsa_user_sgpr_private_segment_size 0
		.amdhsa_wavefront_size32 1
		.amdhsa_uses_dynamic_stack 0
		.amdhsa_enable_private_segment 0
		.amdhsa_system_sgpr_workgroup_id_x 1
		.amdhsa_system_sgpr_workgroup_id_y 0
		.amdhsa_system_sgpr_workgroup_id_z 0
		.amdhsa_system_sgpr_workgroup_info 0
		.amdhsa_system_vgpr_workitem_id 0
		.amdhsa_next_free_vgpr 13
		.amdhsa_next_free_sgpr 17
		.amdhsa_reserve_vcc 1
		.amdhsa_float_round_mode_32 0
		.amdhsa_float_round_mode_16_64 0
		.amdhsa_float_denorm_mode_32 3
		.amdhsa_float_denorm_mode_16_64 3
		.amdhsa_dx10_clamp 1
		.amdhsa_ieee_mode 1
		.amdhsa_fp16_overflow 0
		.amdhsa_workgroup_processor_mode 1
		.amdhsa_memory_ordered 1
		.amdhsa_forward_progress 0
		.amdhsa_shared_vgpr_count 0
		.amdhsa_exception_fp_ieee_invalid_op 0
		.amdhsa_exception_fp_denorm_src 0
		.amdhsa_exception_fp_ieee_div_zero 0
		.amdhsa_exception_fp_ieee_overflow 0
		.amdhsa_exception_fp_ieee_underflow 0
		.amdhsa_exception_fp_ieee_inexact 0
		.amdhsa_exception_int_div_zero 0
	.end_amdhsa_kernel
	.section	.text._ZN9rocsparseL12ell2csr_fillILj256E21rocsparse_complex_numIdEiiEEvT2_S3_S3_PKS3_PKT0_21rocsparse_index_base_PKT1_PS3_PS6_S9_,"axG",@progbits,_ZN9rocsparseL12ell2csr_fillILj256E21rocsparse_complex_numIdEiiEEvT2_S3_S3_PKS3_PKT0_21rocsparse_index_base_PKT1_PS3_PS6_S9_,comdat
.Lfunc_end3:
	.size	_ZN9rocsparseL12ell2csr_fillILj256E21rocsparse_complex_numIdEiiEEvT2_S3_S3_PKS3_PKT0_21rocsparse_index_base_PKT1_PS3_PS6_S9_, .Lfunc_end3-_ZN9rocsparseL12ell2csr_fillILj256E21rocsparse_complex_numIdEiiEEvT2_S3_S3_PKS3_PKT0_21rocsparse_index_base_PKT1_PS3_PS6_S9_
                                        ; -- End function
	.section	.AMDGPU.csdata,"",@progbits
; Kernel info:
; codeLenInByte = 420
; NumSgprs: 19
; NumVgprs: 13
; ScratchSize: 0
; MemoryBound: 0
; FloatMode: 240
; IeeeMode: 1
; LDSByteSize: 0 bytes/workgroup (compile time only)
; SGPRBlocks: 2
; VGPRBlocks: 1
; NumSGPRsForWavesPerEU: 19
; NumVGPRsForWavesPerEU: 13
; Occupancy: 16
; WaveLimiterHint : 0
; COMPUTE_PGM_RSRC2:SCRATCH_EN: 0
; COMPUTE_PGM_RSRC2:USER_SGPR: 15
; COMPUTE_PGM_RSRC2:TRAP_HANDLER: 0
; COMPUTE_PGM_RSRC2:TGID_X_EN: 1
; COMPUTE_PGM_RSRC2:TGID_Y_EN: 0
; COMPUTE_PGM_RSRC2:TGID_Z_EN: 0
; COMPUTE_PGM_RSRC2:TIDIG_COMP_CNT: 0
	.section	.text._ZN9rocsparseL12ell2csr_fillILj256EfliEEvT2_S1_S1_PKS1_PKT0_21rocsparse_index_base_PKT1_PS1_PS4_S7_,"axG",@progbits,_ZN9rocsparseL12ell2csr_fillILj256EfliEEvT2_S1_S1_PKS1_PKT0_21rocsparse_index_base_PKT1_PS1_PS4_S7_,comdat
	.globl	_ZN9rocsparseL12ell2csr_fillILj256EfliEEvT2_S1_S1_PKS1_PKT0_21rocsparse_index_base_PKT1_PS1_PS4_S7_ ; -- Begin function _ZN9rocsparseL12ell2csr_fillILj256EfliEEvT2_S1_S1_PKS1_PKT0_21rocsparse_index_base_PKT1_PS1_PS4_S7_
	.p2align	8
	.type	_ZN9rocsparseL12ell2csr_fillILj256EfliEEvT2_S1_S1_PKS1_PKT0_21rocsparse_index_base_PKT1_PS1_PS4_S7_,@function
_ZN9rocsparseL12ell2csr_fillILj256EfliEEvT2_S1_S1_PKS1_PKT0_21rocsparse_index_base_PKT1_PS1_PS4_S7_: ; @_ZN9rocsparseL12ell2csr_fillILj256EfliEEvT2_S1_S1_PKS1_PKT0_21rocsparse_index_base_PKT1_PS1_PS4_S7_
; %bb.0:
	s_load_b128 s[4:7], s[0:1], 0x0
	v_lshl_or_b32 v0, s15, 8, v0
	s_waitcnt lgkmcnt(0)
	s_mov_b32 s7, 0
	s_delay_alu instid0(VALU_DEP_1) | instskip(SKIP_2) | instid1(SALU_CYCLE_1)
	v_cmp_gt_i32_e32 vcc_lo, s4, v0
	s_cmp_gt_i32 s6, 0
	s_cselect_b32 s2, -1, 0
	s_and_b32 s2, vcc_lo, s2
	s_delay_alu instid0(SALU_CYCLE_1)
	s_and_saveexec_b32 s3, s2
	s_cbranch_execz .LBB4_5
; %bb.1:
	s_clause 0x1
	s_load_b128 s[8:11], s[0:1], 0x28
	s_load_b64 s[2:3], s[0:1], 0x38
	v_ashrrev_i32_e32 v1, 31, v0
	s_add_i32 s6, s6, -1
	s_delay_alu instid0(VALU_DEP_1) | instskip(SKIP_1) | instid1(VALU_DEP_1)
	v_lshlrev_b64 v[1:2], 3, v[0:1]
	s_waitcnt lgkmcnt(0)
	v_add_co_u32 v1, vcc_lo, s8, v1
	s_delay_alu instid0(VALU_DEP_2)
	v_add_co_ci_u32_e32 v2, vcc_lo, s9, v2, vcc_lo
	global_load_b64 v[2:3], v[1:2], off
	s_clause 0x2
	s_load_b32 s8, s[0:1], 0x40
	s_load_b128 s[12:15], s[0:1], 0x10
	s_load_b32 s1, s[0:1], 0x20
	s_waitcnt vmcnt(0) lgkmcnt(0)
	v_sub_co_u32 v2, vcc_lo, v2, s8
	v_subrev_co_ci_u32_e32 v3, vcc_lo, 0, v3, vcc_lo
	s_set_inst_prefetch_distance 0x1
	s_branch .LBB4_3
	.p2align	6
.LBB4_2:                                ;   in Loop: Header=BB4_3 Depth=1
	s_or_b32 exec_lo, exec_lo, s9
	s_cmp_eq_u32 s6, 0
	v_add_nc_u32_e32 v0, s4, v0
	s_cselect_b32 s9, -1, 0
	s_add_i32 s6, s6, -1
	s_or_b32 s0, s0, s9
	s_delay_alu instid0(SALU_CYCLE_1) | instskip(NEXT) | instid1(SALU_CYCLE_1)
	s_and_b32 s0, exec_lo, s0
	s_or_b32 s7, s0, s7
	s_delay_alu instid0(SALU_CYCLE_1)
	s_and_not1_b32 exec_lo, exec_lo, s7
	s_cbranch_execz .LBB4_5
.LBB4_3:                                ; =>This Inner Loop Header: Depth=1
	v_ashrrev_i32_e32 v1, 31, v0
	s_delay_alu instid0(VALU_DEP_1) | instskip(NEXT) | instid1(VALU_DEP_1)
	v_lshlrev_b64 v[4:5], 2, v[0:1]
	v_add_co_u32 v6, vcc_lo, s12, v4
	s_delay_alu instid0(VALU_DEP_2) | instskip(SKIP_3) | instid1(VALU_DEP_1)
	v_add_co_ci_u32_e32 v7, vcc_lo, s13, v5, vcc_lo
	global_load_b32 v1, v[6:7], off
	s_waitcnt vmcnt(0)
	v_subrev_nc_u32_e32 v1, s1, v1
	v_cmp_gt_i32_e32 vcc_lo, 0, v1
	v_cmp_le_i32_e64 s0, s5, v1
	s_delay_alu instid0(VALU_DEP_1) | instskip(NEXT) | instid1(SALU_CYCLE_1)
	s_or_b32 s0, vcc_lo, s0
	s_xor_b32 s16, s0, -1
	s_delay_alu instid0(SALU_CYCLE_1)
	s_and_saveexec_b32 s9, s16
	s_cbranch_execz .LBB4_2
; %bb.4:                                ;   in Loop: Header=BB4_3 Depth=1
	v_add_co_u32 v4, vcc_lo, s14, v4
	v_add_co_ci_u32_e32 v5, vcc_lo, s15, v5, vcc_lo
	v_add_nc_u32_e32 v1, s8, v1
	global_load_b32 v8, v[4:5], off
	v_lshlrev_b64 v[4:5], 2, v[2:3]
	v_add_co_u32 v2, vcc_lo, v2, 1
	v_add_co_ci_u32_e32 v3, vcc_lo, 0, v3, vcc_lo
	s_delay_alu instid0(VALU_DEP_3) | instskip(NEXT) | instid1(VALU_DEP_4)
	v_add_co_u32 v6, vcc_lo, s10, v4
	v_add_co_ci_u32_e32 v7, vcc_lo, s11, v5, vcc_lo
	v_add_co_u32 v4, vcc_lo, s2, v4
	v_add_co_ci_u32_e32 v5, vcc_lo, s3, v5, vcc_lo
	global_store_b32 v[6:7], v1, off
	s_waitcnt vmcnt(0)
	global_store_b32 v[4:5], v8, off
	s_branch .LBB4_2
.LBB4_5:
	s_set_inst_prefetch_distance 0x2
	s_nop 0
	s_sendmsg sendmsg(MSG_DEALLOC_VGPRS)
	s_endpgm
	.section	.rodata,"a",@progbits
	.p2align	6, 0x0
	.amdhsa_kernel _ZN9rocsparseL12ell2csr_fillILj256EfliEEvT2_S1_S1_PKS1_PKT0_21rocsparse_index_base_PKT1_PS1_PS4_S7_
		.amdhsa_group_segment_fixed_size 0
		.amdhsa_private_segment_fixed_size 0
		.amdhsa_kernarg_size 68
		.amdhsa_user_sgpr_count 15
		.amdhsa_user_sgpr_dispatch_ptr 0
		.amdhsa_user_sgpr_queue_ptr 0
		.amdhsa_user_sgpr_kernarg_segment_ptr 1
		.amdhsa_user_sgpr_dispatch_id 0
		.amdhsa_user_sgpr_private_segment_size 0
		.amdhsa_wavefront_size32 1
		.amdhsa_uses_dynamic_stack 0
		.amdhsa_enable_private_segment 0
		.amdhsa_system_sgpr_workgroup_id_x 1
		.amdhsa_system_sgpr_workgroup_id_y 0
		.amdhsa_system_sgpr_workgroup_id_z 0
		.amdhsa_system_sgpr_workgroup_info 0
		.amdhsa_system_vgpr_workitem_id 0
		.amdhsa_next_free_vgpr 9
		.amdhsa_next_free_sgpr 17
		.amdhsa_reserve_vcc 1
		.amdhsa_float_round_mode_32 0
		.amdhsa_float_round_mode_16_64 0
		.amdhsa_float_denorm_mode_32 3
		.amdhsa_float_denorm_mode_16_64 3
		.amdhsa_dx10_clamp 1
		.amdhsa_ieee_mode 1
		.amdhsa_fp16_overflow 0
		.amdhsa_workgroup_processor_mode 1
		.amdhsa_memory_ordered 1
		.amdhsa_forward_progress 0
		.amdhsa_shared_vgpr_count 0
		.amdhsa_exception_fp_ieee_invalid_op 0
		.amdhsa_exception_fp_denorm_src 0
		.amdhsa_exception_fp_ieee_div_zero 0
		.amdhsa_exception_fp_ieee_overflow 0
		.amdhsa_exception_fp_ieee_underflow 0
		.amdhsa_exception_fp_ieee_inexact 0
		.amdhsa_exception_int_div_zero 0
	.end_amdhsa_kernel
	.section	.text._ZN9rocsparseL12ell2csr_fillILj256EfliEEvT2_S1_S1_PKS1_PKT0_21rocsparse_index_base_PKT1_PS1_PS4_S7_,"axG",@progbits,_ZN9rocsparseL12ell2csr_fillILj256EfliEEvT2_S1_S1_PKS1_PKT0_21rocsparse_index_base_PKT1_PS1_PS4_S7_,comdat
.Lfunc_end4:
	.size	_ZN9rocsparseL12ell2csr_fillILj256EfliEEvT2_S1_S1_PKS1_PKT0_21rocsparse_index_base_PKT1_PS1_PS4_S7_, .Lfunc_end4-_ZN9rocsparseL12ell2csr_fillILj256EfliEEvT2_S1_S1_PKS1_PKT0_21rocsparse_index_base_PKT1_PS1_PS4_S7_
                                        ; -- End function
	.section	.AMDGPU.csdata,"",@progbits
; Kernel info:
; codeLenInByte = 420
; NumSgprs: 19
; NumVgprs: 9
; ScratchSize: 0
; MemoryBound: 0
; FloatMode: 240
; IeeeMode: 1
; LDSByteSize: 0 bytes/workgroup (compile time only)
; SGPRBlocks: 2
; VGPRBlocks: 1
; NumSGPRsForWavesPerEU: 19
; NumVGPRsForWavesPerEU: 9
; Occupancy: 16
; WaveLimiterHint : 0
; COMPUTE_PGM_RSRC2:SCRATCH_EN: 0
; COMPUTE_PGM_RSRC2:USER_SGPR: 15
; COMPUTE_PGM_RSRC2:TRAP_HANDLER: 0
; COMPUTE_PGM_RSRC2:TGID_X_EN: 1
; COMPUTE_PGM_RSRC2:TGID_Y_EN: 0
; COMPUTE_PGM_RSRC2:TGID_Z_EN: 0
; COMPUTE_PGM_RSRC2:TIDIG_COMP_CNT: 0
	.section	.text._ZN9rocsparseL12ell2csr_fillILj256E21rocsparse_complex_numIfEliEEvT2_S3_S3_PKS3_PKT0_21rocsparse_index_base_PKT1_PS3_PS6_S9_,"axG",@progbits,_ZN9rocsparseL12ell2csr_fillILj256E21rocsparse_complex_numIfEliEEvT2_S3_S3_PKS3_PKT0_21rocsparse_index_base_PKT1_PS3_PS6_S9_,comdat
	.globl	_ZN9rocsparseL12ell2csr_fillILj256E21rocsparse_complex_numIfEliEEvT2_S3_S3_PKS3_PKT0_21rocsparse_index_base_PKT1_PS3_PS6_S9_ ; -- Begin function _ZN9rocsparseL12ell2csr_fillILj256E21rocsparse_complex_numIfEliEEvT2_S3_S3_PKS3_PKT0_21rocsparse_index_base_PKT1_PS3_PS6_S9_
	.p2align	8
	.type	_ZN9rocsparseL12ell2csr_fillILj256E21rocsparse_complex_numIfEliEEvT2_S3_S3_PKS3_PKT0_21rocsparse_index_base_PKT1_PS3_PS6_S9_,@function
_ZN9rocsparseL12ell2csr_fillILj256E21rocsparse_complex_numIfEliEEvT2_S3_S3_PKS3_PKT0_21rocsparse_index_base_PKT1_PS3_PS6_S9_: ; @_ZN9rocsparseL12ell2csr_fillILj256E21rocsparse_complex_numIfEliEEvT2_S3_S3_PKS3_PKT0_21rocsparse_index_base_PKT1_PS3_PS6_S9_
; %bb.0:
	s_load_b128 s[4:7], s[0:1], 0x0
	v_lshl_or_b32 v0, s15, 8, v0
	s_waitcnt lgkmcnt(0)
	s_mov_b32 s7, 0
	s_delay_alu instid0(VALU_DEP_1) | instskip(SKIP_2) | instid1(SALU_CYCLE_1)
	v_cmp_gt_i32_e32 vcc_lo, s4, v0
	s_cmp_gt_i32 s6, 0
	s_cselect_b32 s2, -1, 0
	s_and_b32 s2, vcc_lo, s2
	s_delay_alu instid0(SALU_CYCLE_1)
	s_and_saveexec_b32 s3, s2
	s_cbranch_execz .LBB5_5
; %bb.1:
	s_clause 0x1
	s_load_b128 s[8:11], s[0:1], 0x28
	s_load_b64 s[2:3], s[0:1], 0x38
	v_ashrrev_i32_e32 v1, 31, v0
	s_add_i32 s6, s6, -1
	s_delay_alu instid0(VALU_DEP_1) | instskip(SKIP_1) | instid1(VALU_DEP_1)
	v_lshlrev_b64 v[1:2], 3, v[0:1]
	s_waitcnt lgkmcnt(0)
	v_add_co_u32 v1, vcc_lo, s8, v1
	s_delay_alu instid0(VALU_DEP_2)
	v_add_co_ci_u32_e32 v2, vcc_lo, s9, v2, vcc_lo
	global_load_b64 v[2:3], v[1:2], off
	s_clause 0x2
	s_load_b32 s8, s[0:1], 0x40
	s_load_b128 s[12:15], s[0:1], 0x10
	s_load_b32 s1, s[0:1], 0x20
	s_waitcnt vmcnt(0) lgkmcnt(0)
	v_sub_co_u32 v2, vcc_lo, v2, s8
	v_subrev_co_ci_u32_e32 v3, vcc_lo, 0, v3, vcc_lo
	s_branch .LBB5_3
.LBB5_2:                                ;   in Loop: Header=BB5_3 Depth=1
	s_or_b32 exec_lo, exec_lo, s9
	s_cmp_eq_u32 s6, 0
	v_add_nc_u32_e32 v0, s4, v0
	s_cselect_b32 s9, -1, 0
	s_add_i32 s6, s6, -1
	s_or_b32 s0, s0, s9
	s_delay_alu instid0(SALU_CYCLE_1) | instskip(NEXT) | instid1(SALU_CYCLE_1)
	s_and_b32 s0, exec_lo, s0
	s_or_b32 s7, s0, s7
	s_delay_alu instid0(SALU_CYCLE_1)
	s_and_not1_b32 exec_lo, exec_lo, s7
	s_cbranch_execz .LBB5_5
.LBB5_3:                                ; =>This Inner Loop Header: Depth=1
	v_ashrrev_i32_e32 v1, 31, v0
	s_delay_alu instid0(VALU_DEP_1) | instskip(NEXT) | instid1(VALU_DEP_1)
	v_lshlrev_b64 v[4:5], 2, v[0:1]
	v_add_co_u32 v4, vcc_lo, s12, v4
	s_delay_alu instid0(VALU_DEP_2) | instskip(SKIP_3) | instid1(VALU_DEP_1)
	v_add_co_ci_u32_e32 v5, vcc_lo, s13, v5, vcc_lo
	global_load_b32 v4, v[4:5], off
	s_waitcnt vmcnt(0)
	v_subrev_nc_u32_e32 v4, s1, v4
	v_cmp_gt_i32_e32 vcc_lo, 0, v4
	v_cmp_le_i32_e64 s0, s5, v4
	s_delay_alu instid0(VALU_DEP_1) | instskip(NEXT) | instid1(SALU_CYCLE_1)
	s_or_b32 s0, vcc_lo, s0
	s_xor_b32 s16, s0, -1
	s_delay_alu instid0(SALU_CYCLE_1)
	s_and_saveexec_b32 s9, s16
	s_cbranch_execz .LBB5_2
; %bb.4:                                ;   in Loop: Header=BB5_3 Depth=1
	v_lshlrev_b64 v[5:6], 3, v[0:1]
	v_lshlrev_b64 v[7:8], 2, v[2:3]
	s_delay_alu instid0(VALU_DEP_2) | instskip(NEXT) | instid1(VALU_DEP_3)
	v_add_co_u32 v5, vcc_lo, s14, v5
	v_add_co_ci_u32_e32 v6, vcc_lo, s15, v6, vcc_lo
	v_add_co_u32 v9, vcc_lo, v2, 1
	v_lshlrev_b64 v[1:2], 3, v[2:3]
	global_load_b64 v[5:6], v[5:6], off
	v_add_co_ci_u32_e32 v10, vcc_lo, 0, v3, vcc_lo
	v_add_co_u32 v7, vcc_lo, s10, v7
	v_add_co_ci_u32_e32 v8, vcc_lo, s11, v8, vcc_lo
	v_add_co_u32 v11, vcc_lo, s2, v1
	v_add_co_ci_u32_e32 v12, vcc_lo, s3, v2, vcc_lo
	v_mov_b32_e32 v2, v9
	v_dual_mov_b32 v3, v10 :: v_dual_add_nc_u32 v4, s8, v4
	global_store_b32 v[7:8], v4, off
	s_waitcnt vmcnt(0)
	global_store_b64 v[11:12], v[5:6], off
	s_branch .LBB5_2
.LBB5_5:
	s_nop 0
	s_sendmsg sendmsg(MSG_DEALLOC_VGPRS)
	s_endpgm
	.section	.rodata,"a",@progbits
	.p2align	6, 0x0
	.amdhsa_kernel _ZN9rocsparseL12ell2csr_fillILj256E21rocsparse_complex_numIfEliEEvT2_S3_S3_PKS3_PKT0_21rocsparse_index_base_PKT1_PS3_PS6_S9_
		.amdhsa_group_segment_fixed_size 0
		.amdhsa_private_segment_fixed_size 0
		.amdhsa_kernarg_size 68
		.amdhsa_user_sgpr_count 15
		.amdhsa_user_sgpr_dispatch_ptr 0
		.amdhsa_user_sgpr_queue_ptr 0
		.amdhsa_user_sgpr_kernarg_segment_ptr 1
		.amdhsa_user_sgpr_dispatch_id 0
		.amdhsa_user_sgpr_private_segment_size 0
		.amdhsa_wavefront_size32 1
		.amdhsa_uses_dynamic_stack 0
		.amdhsa_enable_private_segment 0
		.amdhsa_system_sgpr_workgroup_id_x 1
		.amdhsa_system_sgpr_workgroup_id_y 0
		.amdhsa_system_sgpr_workgroup_id_z 0
		.amdhsa_system_sgpr_workgroup_info 0
		.amdhsa_system_vgpr_workitem_id 0
		.amdhsa_next_free_vgpr 13
		.amdhsa_next_free_sgpr 17
		.amdhsa_reserve_vcc 1
		.amdhsa_float_round_mode_32 0
		.amdhsa_float_round_mode_16_64 0
		.amdhsa_float_denorm_mode_32 3
		.amdhsa_float_denorm_mode_16_64 3
		.amdhsa_dx10_clamp 1
		.amdhsa_ieee_mode 1
		.amdhsa_fp16_overflow 0
		.amdhsa_workgroup_processor_mode 1
		.amdhsa_memory_ordered 1
		.amdhsa_forward_progress 0
		.amdhsa_shared_vgpr_count 0
		.amdhsa_exception_fp_ieee_invalid_op 0
		.amdhsa_exception_fp_denorm_src 0
		.amdhsa_exception_fp_ieee_div_zero 0
		.amdhsa_exception_fp_ieee_overflow 0
		.amdhsa_exception_fp_ieee_underflow 0
		.amdhsa_exception_fp_ieee_inexact 0
		.amdhsa_exception_int_div_zero 0
	.end_amdhsa_kernel
	.section	.text._ZN9rocsparseL12ell2csr_fillILj256E21rocsparse_complex_numIfEliEEvT2_S3_S3_PKS3_PKT0_21rocsparse_index_base_PKT1_PS3_PS6_S9_,"axG",@progbits,_ZN9rocsparseL12ell2csr_fillILj256E21rocsparse_complex_numIfEliEEvT2_S3_S3_PKS3_PKT0_21rocsparse_index_base_PKT1_PS3_PS6_S9_,comdat
.Lfunc_end5:
	.size	_ZN9rocsparseL12ell2csr_fillILj256E21rocsparse_complex_numIfEliEEvT2_S3_S3_PKS3_PKT0_21rocsparse_index_base_PKT1_PS3_PS6_S9_, .Lfunc_end5-_ZN9rocsparseL12ell2csr_fillILj256E21rocsparse_complex_numIfEliEEvT2_S3_S3_PKS3_PKT0_21rocsparse_index_base_PKT1_PS3_PS6_S9_
                                        ; -- End function
	.section	.AMDGPU.csdata,"",@progbits
; Kernel info:
; codeLenInByte = 436
; NumSgprs: 19
; NumVgprs: 13
; ScratchSize: 0
; MemoryBound: 0
; FloatMode: 240
; IeeeMode: 1
; LDSByteSize: 0 bytes/workgroup (compile time only)
; SGPRBlocks: 2
; VGPRBlocks: 1
; NumSGPRsForWavesPerEU: 19
; NumVGPRsForWavesPerEU: 13
; Occupancy: 16
; WaveLimiterHint : 0
; COMPUTE_PGM_RSRC2:SCRATCH_EN: 0
; COMPUTE_PGM_RSRC2:USER_SGPR: 15
; COMPUTE_PGM_RSRC2:TRAP_HANDLER: 0
; COMPUTE_PGM_RSRC2:TGID_X_EN: 1
; COMPUTE_PGM_RSRC2:TGID_Y_EN: 0
; COMPUTE_PGM_RSRC2:TGID_Z_EN: 0
; COMPUTE_PGM_RSRC2:TIDIG_COMP_CNT: 0
	.section	.text._ZN9rocsparseL12ell2csr_fillILj256EdliEEvT2_S1_S1_PKS1_PKT0_21rocsparse_index_base_PKT1_PS1_PS4_S7_,"axG",@progbits,_ZN9rocsparseL12ell2csr_fillILj256EdliEEvT2_S1_S1_PKS1_PKT0_21rocsparse_index_base_PKT1_PS1_PS4_S7_,comdat
	.globl	_ZN9rocsparseL12ell2csr_fillILj256EdliEEvT2_S1_S1_PKS1_PKT0_21rocsparse_index_base_PKT1_PS1_PS4_S7_ ; -- Begin function _ZN9rocsparseL12ell2csr_fillILj256EdliEEvT2_S1_S1_PKS1_PKT0_21rocsparse_index_base_PKT1_PS1_PS4_S7_
	.p2align	8
	.type	_ZN9rocsparseL12ell2csr_fillILj256EdliEEvT2_S1_S1_PKS1_PKT0_21rocsparse_index_base_PKT1_PS1_PS4_S7_,@function
_ZN9rocsparseL12ell2csr_fillILj256EdliEEvT2_S1_S1_PKS1_PKT0_21rocsparse_index_base_PKT1_PS1_PS4_S7_: ; @_ZN9rocsparseL12ell2csr_fillILj256EdliEEvT2_S1_S1_PKS1_PKT0_21rocsparse_index_base_PKT1_PS1_PS4_S7_
; %bb.0:
	s_load_b128 s[4:7], s[0:1], 0x0
	v_lshl_or_b32 v0, s15, 8, v0
	s_waitcnt lgkmcnt(0)
	s_mov_b32 s7, 0
	s_delay_alu instid0(VALU_DEP_1) | instskip(SKIP_2) | instid1(SALU_CYCLE_1)
	v_cmp_gt_i32_e32 vcc_lo, s4, v0
	s_cmp_gt_i32 s6, 0
	s_cselect_b32 s2, -1, 0
	s_and_b32 s2, vcc_lo, s2
	s_delay_alu instid0(SALU_CYCLE_1)
	s_and_saveexec_b32 s3, s2
	s_cbranch_execz .LBB6_5
; %bb.1:
	s_clause 0x1
	s_load_b128 s[8:11], s[0:1], 0x28
	s_load_b64 s[2:3], s[0:1], 0x38
	v_ashrrev_i32_e32 v1, 31, v0
	s_add_i32 s6, s6, -1
	s_delay_alu instid0(VALU_DEP_1) | instskip(SKIP_1) | instid1(VALU_DEP_1)
	v_lshlrev_b64 v[1:2], 3, v[0:1]
	s_waitcnt lgkmcnt(0)
	v_add_co_u32 v1, vcc_lo, s8, v1
	s_delay_alu instid0(VALU_DEP_2)
	v_add_co_ci_u32_e32 v2, vcc_lo, s9, v2, vcc_lo
	global_load_b64 v[2:3], v[1:2], off
	s_clause 0x2
	s_load_b32 s8, s[0:1], 0x40
	s_load_b128 s[12:15], s[0:1], 0x10
	s_load_b32 s1, s[0:1], 0x20
	s_waitcnt vmcnt(0) lgkmcnt(0)
	v_sub_co_u32 v2, vcc_lo, v2, s8
	v_subrev_co_ci_u32_e32 v3, vcc_lo, 0, v3, vcc_lo
	s_branch .LBB6_3
.LBB6_2:                                ;   in Loop: Header=BB6_3 Depth=1
	s_or_b32 exec_lo, exec_lo, s9
	s_cmp_eq_u32 s6, 0
	v_add_nc_u32_e32 v0, s4, v0
	s_cselect_b32 s9, -1, 0
	s_add_i32 s6, s6, -1
	s_or_b32 s0, s0, s9
	s_delay_alu instid0(SALU_CYCLE_1) | instskip(NEXT) | instid1(SALU_CYCLE_1)
	s_and_b32 s0, exec_lo, s0
	s_or_b32 s7, s0, s7
	s_delay_alu instid0(SALU_CYCLE_1)
	s_and_not1_b32 exec_lo, exec_lo, s7
	s_cbranch_execz .LBB6_5
.LBB6_3:                                ; =>This Inner Loop Header: Depth=1
	v_ashrrev_i32_e32 v1, 31, v0
	s_delay_alu instid0(VALU_DEP_1) | instskip(NEXT) | instid1(VALU_DEP_1)
	v_lshlrev_b64 v[4:5], 2, v[0:1]
	v_add_co_u32 v4, vcc_lo, s12, v4
	s_delay_alu instid0(VALU_DEP_2) | instskip(SKIP_3) | instid1(VALU_DEP_1)
	v_add_co_ci_u32_e32 v5, vcc_lo, s13, v5, vcc_lo
	global_load_b32 v4, v[4:5], off
	s_waitcnt vmcnt(0)
	v_subrev_nc_u32_e32 v4, s1, v4
	v_cmp_gt_i32_e32 vcc_lo, 0, v4
	v_cmp_le_i32_e64 s0, s5, v4
	s_delay_alu instid0(VALU_DEP_1) | instskip(NEXT) | instid1(SALU_CYCLE_1)
	s_or_b32 s0, vcc_lo, s0
	s_xor_b32 s16, s0, -1
	s_delay_alu instid0(SALU_CYCLE_1)
	s_and_saveexec_b32 s9, s16
	s_cbranch_execz .LBB6_2
; %bb.4:                                ;   in Loop: Header=BB6_3 Depth=1
	v_lshlrev_b64 v[5:6], 3, v[0:1]
	v_lshlrev_b64 v[7:8], 2, v[2:3]
	s_delay_alu instid0(VALU_DEP_2) | instskip(NEXT) | instid1(VALU_DEP_3)
	v_add_co_u32 v5, vcc_lo, s14, v5
	v_add_co_ci_u32_e32 v6, vcc_lo, s15, v6, vcc_lo
	v_add_co_u32 v9, vcc_lo, v2, 1
	v_lshlrev_b64 v[1:2], 3, v[2:3]
	global_load_b64 v[5:6], v[5:6], off
	v_add_co_ci_u32_e32 v10, vcc_lo, 0, v3, vcc_lo
	v_add_co_u32 v7, vcc_lo, s10, v7
	v_add_co_ci_u32_e32 v8, vcc_lo, s11, v8, vcc_lo
	v_add_co_u32 v11, vcc_lo, s2, v1
	v_add_co_ci_u32_e32 v12, vcc_lo, s3, v2, vcc_lo
	v_mov_b32_e32 v2, v9
	v_dual_mov_b32 v3, v10 :: v_dual_add_nc_u32 v4, s8, v4
	global_store_b32 v[7:8], v4, off
	s_waitcnt vmcnt(0)
	global_store_b64 v[11:12], v[5:6], off
	s_branch .LBB6_2
.LBB6_5:
	s_nop 0
	s_sendmsg sendmsg(MSG_DEALLOC_VGPRS)
	s_endpgm
	.section	.rodata,"a",@progbits
	.p2align	6, 0x0
	.amdhsa_kernel _ZN9rocsparseL12ell2csr_fillILj256EdliEEvT2_S1_S1_PKS1_PKT0_21rocsparse_index_base_PKT1_PS1_PS4_S7_
		.amdhsa_group_segment_fixed_size 0
		.amdhsa_private_segment_fixed_size 0
		.amdhsa_kernarg_size 68
		.amdhsa_user_sgpr_count 15
		.amdhsa_user_sgpr_dispatch_ptr 0
		.amdhsa_user_sgpr_queue_ptr 0
		.amdhsa_user_sgpr_kernarg_segment_ptr 1
		.amdhsa_user_sgpr_dispatch_id 0
		.amdhsa_user_sgpr_private_segment_size 0
		.amdhsa_wavefront_size32 1
		.amdhsa_uses_dynamic_stack 0
		.amdhsa_enable_private_segment 0
		.amdhsa_system_sgpr_workgroup_id_x 1
		.amdhsa_system_sgpr_workgroup_id_y 0
		.amdhsa_system_sgpr_workgroup_id_z 0
		.amdhsa_system_sgpr_workgroup_info 0
		.amdhsa_system_vgpr_workitem_id 0
		.amdhsa_next_free_vgpr 13
		.amdhsa_next_free_sgpr 17
		.amdhsa_reserve_vcc 1
		.amdhsa_float_round_mode_32 0
		.amdhsa_float_round_mode_16_64 0
		.amdhsa_float_denorm_mode_32 3
		.amdhsa_float_denorm_mode_16_64 3
		.amdhsa_dx10_clamp 1
		.amdhsa_ieee_mode 1
		.amdhsa_fp16_overflow 0
		.amdhsa_workgroup_processor_mode 1
		.amdhsa_memory_ordered 1
		.amdhsa_forward_progress 0
		.amdhsa_shared_vgpr_count 0
		.amdhsa_exception_fp_ieee_invalid_op 0
		.amdhsa_exception_fp_denorm_src 0
		.amdhsa_exception_fp_ieee_div_zero 0
		.amdhsa_exception_fp_ieee_overflow 0
		.amdhsa_exception_fp_ieee_underflow 0
		.amdhsa_exception_fp_ieee_inexact 0
		.amdhsa_exception_int_div_zero 0
	.end_amdhsa_kernel
	.section	.text._ZN9rocsparseL12ell2csr_fillILj256EdliEEvT2_S1_S1_PKS1_PKT0_21rocsparse_index_base_PKT1_PS1_PS4_S7_,"axG",@progbits,_ZN9rocsparseL12ell2csr_fillILj256EdliEEvT2_S1_S1_PKS1_PKT0_21rocsparse_index_base_PKT1_PS1_PS4_S7_,comdat
.Lfunc_end6:
	.size	_ZN9rocsparseL12ell2csr_fillILj256EdliEEvT2_S1_S1_PKS1_PKT0_21rocsparse_index_base_PKT1_PS1_PS4_S7_, .Lfunc_end6-_ZN9rocsparseL12ell2csr_fillILj256EdliEEvT2_S1_S1_PKS1_PKT0_21rocsparse_index_base_PKT1_PS1_PS4_S7_
                                        ; -- End function
	.section	.AMDGPU.csdata,"",@progbits
; Kernel info:
; codeLenInByte = 436
; NumSgprs: 19
; NumVgprs: 13
; ScratchSize: 0
; MemoryBound: 0
; FloatMode: 240
; IeeeMode: 1
; LDSByteSize: 0 bytes/workgroup (compile time only)
; SGPRBlocks: 2
; VGPRBlocks: 1
; NumSGPRsForWavesPerEU: 19
; NumVGPRsForWavesPerEU: 13
; Occupancy: 16
; WaveLimiterHint : 0
; COMPUTE_PGM_RSRC2:SCRATCH_EN: 0
; COMPUTE_PGM_RSRC2:USER_SGPR: 15
; COMPUTE_PGM_RSRC2:TRAP_HANDLER: 0
; COMPUTE_PGM_RSRC2:TGID_X_EN: 1
; COMPUTE_PGM_RSRC2:TGID_Y_EN: 0
; COMPUTE_PGM_RSRC2:TGID_Z_EN: 0
; COMPUTE_PGM_RSRC2:TIDIG_COMP_CNT: 0
	.section	.text._ZN9rocsparseL12ell2csr_fillILj256E21rocsparse_complex_numIdEliEEvT2_S3_S3_PKS3_PKT0_21rocsparse_index_base_PKT1_PS3_PS6_S9_,"axG",@progbits,_ZN9rocsparseL12ell2csr_fillILj256E21rocsparse_complex_numIdEliEEvT2_S3_S3_PKS3_PKT0_21rocsparse_index_base_PKT1_PS3_PS6_S9_,comdat
	.globl	_ZN9rocsparseL12ell2csr_fillILj256E21rocsparse_complex_numIdEliEEvT2_S3_S3_PKS3_PKT0_21rocsparse_index_base_PKT1_PS3_PS6_S9_ ; -- Begin function _ZN9rocsparseL12ell2csr_fillILj256E21rocsparse_complex_numIdEliEEvT2_S3_S3_PKS3_PKT0_21rocsparse_index_base_PKT1_PS3_PS6_S9_
	.p2align	8
	.type	_ZN9rocsparseL12ell2csr_fillILj256E21rocsparse_complex_numIdEliEEvT2_S3_S3_PKS3_PKT0_21rocsparse_index_base_PKT1_PS3_PS6_S9_,@function
_ZN9rocsparseL12ell2csr_fillILj256E21rocsparse_complex_numIdEliEEvT2_S3_S3_PKS3_PKT0_21rocsparse_index_base_PKT1_PS3_PS6_S9_: ; @_ZN9rocsparseL12ell2csr_fillILj256E21rocsparse_complex_numIdEliEEvT2_S3_S3_PKS3_PKT0_21rocsparse_index_base_PKT1_PS3_PS6_S9_
; %bb.0:
	s_load_b128 s[4:7], s[0:1], 0x0
	v_lshl_or_b32 v0, s15, 8, v0
	s_waitcnt lgkmcnt(0)
	s_mov_b32 s7, 0
	s_delay_alu instid0(VALU_DEP_1) | instskip(SKIP_2) | instid1(SALU_CYCLE_1)
	v_cmp_gt_i32_e32 vcc_lo, s4, v0
	s_cmp_gt_i32 s6, 0
	s_cselect_b32 s2, -1, 0
	s_and_b32 s2, vcc_lo, s2
	s_delay_alu instid0(SALU_CYCLE_1)
	s_and_saveexec_b32 s3, s2
	s_cbranch_execz .LBB7_5
; %bb.1:
	s_clause 0x1
	s_load_b128 s[8:11], s[0:1], 0x28
	s_load_b64 s[2:3], s[0:1], 0x38
	v_ashrrev_i32_e32 v1, 31, v0
	s_add_i32 s6, s6, -1
	s_delay_alu instid0(VALU_DEP_1) | instskip(SKIP_1) | instid1(VALU_DEP_1)
	v_lshlrev_b64 v[1:2], 3, v[0:1]
	s_waitcnt lgkmcnt(0)
	v_add_co_u32 v1, vcc_lo, s8, v1
	s_delay_alu instid0(VALU_DEP_2)
	v_add_co_ci_u32_e32 v2, vcc_lo, s9, v2, vcc_lo
	global_load_b64 v[2:3], v[1:2], off
	s_clause 0x2
	s_load_b32 s8, s[0:1], 0x40
	s_load_b128 s[12:15], s[0:1], 0x10
	s_load_b32 s1, s[0:1], 0x20
	s_waitcnt vmcnt(0) lgkmcnt(0)
	v_sub_co_u32 v2, vcc_lo, v2, s8
	v_subrev_co_ci_u32_e32 v3, vcc_lo, 0, v3, vcc_lo
	s_branch .LBB7_3
.LBB7_2:                                ;   in Loop: Header=BB7_3 Depth=1
	s_or_b32 exec_lo, exec_lo, s9
	s_cmp_eq_u32 s6, 0
	v_add_nc_u32_e32 v0, s4, v0
	s_cselect_b32 s9, -1, 0
	s_add_i32 s6, s6, -1
	s_or_b32 s0, s0, s9
	s_delay_alu instid0(SALU_CYCLE_1) | instskip(NEXT) | instid1(SALU_CYCLE_1)
	s_and_b32 s0, exec_lo, s0
	s_or_b32 s7, s0, s7
	s_delay_alu instid0(SALU_CYCLE_1)
	s_and_not1_b32 exec_lo, exec_lo, s7
	s_cbranch_execz .LBB7_5
.LBB7_3:                                ; =>This Inner Loop Header: Depth=1
	v_ashrrev_i32_e32 v1, 31, v0
	s_delay_alu instid0(VALU_DEP_1) | instskip(NEXT) | instid1(VALU_DEP_1)
	v_lshlrev_b64 v[4:5], 2, v[0:1]
	v_add_co_u32 v4, vcc_lo, s12, v4
	s_delay_alu instid0(VALU_DEP_2) | instskip(SKIP_3) | instid1(VALU_DEP_1)
	v_add_co_ci_u32_e32 v5, vcc_lo, s13, v5, vcc_lo
	global_load_b32 v4, v[4:5], off
	s_waitcnt vmcnt(0)
	v_subrev_nc_u32_e32 v4, s1, v4
	v_cmp_gt_i32_e32 vcc_lo, 0, v4
	v_cmp_le_i32_e64 s0, s5, v4
	s_delay_alu instid0(VALU_DEP_1) | instskip(NEXT) | instid1(SALU_CYCLE_1)
	s_or_b32 s0, vcc_lo, s0
	s_xor_b32 s16, s0, -1
	s_delay_alu instid0(SALU_CYCLE_1)
	s_and_saveexec_b32 s9, s16
	s_cbranch_execz .LBB7_2
; %bb.4:                                ;   in Loop: Header=BB7_3 Depth=1
	v_lshlrev_b64 v[5:6], 4, v[0:1]
	v_lshlrev_b64 v[9:10], 2, v[2:3]
	s_delay_alu instid0(VALU_DEP_2) | instskip(NEXT) | instid1(VALU_DEP_3)
	v_add_co_u32 v5, vcc_lo, s14, v5
	v_add_co_ci_u32_e32 v6, vcc_lo, s15, v6, vcc_lo
	v_add_co_u32 v11, vcc_lo, v2, 1
	v_lshlrev_b64 v[1:2], 4, v[2:3]
	global_load_b128 v[5:8], v[5:6], off
	v_add_co_ci_u32_e32 v12, vcc_lo, 0, v3, vcc_lo
	v_add_co_u32 v9, vcc_lo, s10, v9
	v_add_co_ci_u32_e32 v10, vcc_lo, s11, v10, vcc_lo
	v_add_co_u32 v13, vcc_lo, s2, v1
	v_add_co_ci_u32_e32 v14, vcc_lo, s3, v2, vcc_lo
	v_mov_b32_e32 v2, v11
	v_dual_mov_b32 v3, v12 :: v_dual_add_nc_u32 v4, s8, v4
	global_store_b32 v[9:10], v4, off
	s_waitcnt vmcnt(0)
	global_store_b128 v[13:14], v[5:8], off
	s_branch .LBB7_2
.LBB7_5:
	s_nop 0
	s_sendmsg sendmsg(MSG_DEALLOC_VGPRS)
	s_endpgm
	.section	.rodata,"a",@progbits
	.p2align	6, 0x0
	.amdhsa_kernel _ZN9rocsparseL12ell2csr_fillILj256E21rocsparse_complex_numIdEliEEvT2_S3_S3_PKS3_PKT0_21rocsparse_index_base_PKT1_PS3_PS6_S9_
		.amdhsa_group_segment_fixed_size 0
		.amdhsa_private_segment_fixed_size 0
		.amdhsa_kernarg_size 68
		.amdhsa_user_sgpr_count 15
		.amdhsa_user_sgpr_dispatch_ptr 0
		.amdhsa_user_sgpr_queue_ptr 0
		.amdhsa_user_sgpr_kernarg_segment_ptr 1
		.amdhsa_user_sgpr_dispatch_id 0
		.amdhsa_user_sgpr_private_segment_size 0
		.amdhsa_wavefront_size32 1
		.amdhsa_uses_dynamic_stack 0
		.amdhsa_enable_private_segment 0
		.amdhsa_system_sgpr_workgroup_id_x 1
		.amdhsa_system_sgpr_workgroup_id_y 0
		.amdhsa_system_sgpr_workgroup_id_z 0
		.amdhsa_system_sgpr_workgroup_info 0
		.amdhsa_system_vgpr_workitem_id 0
		.amdhsa_next_free_vgpr 15
		.amdhsa_next_free_sgpr 17
		.amdhsa_reserve_vcc 1
		.amdhsa_float_round_mode_32 0
		.amdhsa_float_round_mode_16_64 0
		.amdhsa_float_denorm_mode_32 3
		.amdhsa_float_denorm_mode_16_64 3
		.amdhsa_dx10_clamp 1
		.amdhsa_ieee_mode 1
		.amdhsa_fp16_overflow 0
		.amdhsa_workgroup_processor_mode 1
		.amdhsa_memory_ordered 1
		.amdhsa_forward_progress 0
		.amdhsa_shared_vgpr_count 0
		.amdhsa_exception_fp_ieee_invalid_op 0
		.amdhsa_exception_fp_denorm_src 0
		.amdhsa_exception_fp_ieee_div_zero 0
		.amdhsa_exception_fp_ieee_overflow 0
		.amdhsa_exception_fp_ieee_underflow 0
		.amdhsa_exception_fp_ieee_inexact 0
		.amdhsa_exception_int_div_zero 0
	.end_amdhsa_kernel
	.section	.text._ZN9rocsparseL12ell2csr_fillILj256E21rocsparse_complex_numIdEliEEvT2_S3_S3_PKS3_PKT0_21rocsparse_index_base_PKT1_PS3_PS6_S9_,"axG",@progbits,_ZN9rocsparseL12ell2csr_fillILj256E21rocsparse_complex_numIdEliEEvT2_S3_S3_PKS3_PKT0_21rocsparse_index_base_PKT1_PS3_PS6_S9_,comdat
.Lfunc_end7:
	.size	_ZN9rocsparseL12ell2csr_fillILj256E21rocsparse_complex_numIdEliEEvT2_S3_S3_PKS3_PKT0_21rocsparse_index_base_PKT1_PS3_PS6_S9_, .Lfunc_end7-_ZN9rocsparseL12ell2csr_fillILj256E21rocsparse_complex_numIdEliEEvT2_S3_S3_PKS3_PKT0_21rocsparse_index_base_PKT1_PS3_PS6_S9_
                                        ; -- End function
	.section	.AMDGPU.csdata,"",@progbits
; Kernel info:
; codeLenInByte = 436
; NumSgprs: 19
; NumVgprs: 15
; ScratchSize: 0
; MemoryBound: 0
; FloatMode: 240
; IeeeMode: 1
; LDSByteSize: 0 bytes/workgroup (compile time only)
; SGPRBlocks: 2
; VGPRBlocks: 1
; NumSGPRsForWavesPerEU: 19
; NumVGPRsForWavesPerEU: 15
; Occupancy: 16
; WaveLimiterHint : 0
; COMPUTE_PGM_RSRC2:SCRATCH_EN: 0
; COMPUTE_PGM_RSRC2:USER_SGPR: 15
; COMPUTE_PGM_RSRC2:TRAP_HANDLER: 0
; COMPUTE_PGM_RSRC2:TGID_X_EN: 1
; COMPUTE_PGM_RSRC2:TGID_Y_EN: 0
; COMPUTE_PGM_RSRC2:TGID_Z_EN: 0
; COMPUTE_PGM_RSRC2:TIDIG_COMP_CNT: 0
	.section	.text._ZN9rocsparseL12ell2csr_fillILj256EfilEEvT2_S1_S1_PKS1_PKT0_21rocsparse_index_base_PKT1_PS1_PS4_S7_,"axG",@progbits,_ZN9rocsparseL12ell2csr_fillILj256EfilEEvT2_S1_S1_PKS1_PKT0_21rocsparse_index_base_PKT1_PS1_PS4_S7_,comdat
	.globl	_ZN9rocsparseL12ell2csr_fillILj256EfilEEvT2_S1_S1_PKS1_PKT0_21rocsparse_index_base_PKT1_PS1_PS4_S7_ ; -- Begin function _ZN9rocsparseL12ell2csr_fillILj256EfilEEvT2_S1_S1_PKS1_PKT0_21rocsparse_index_base_PKT1_PS1_PS4_S7_
	.p2align	8
	.type	_ZN9rocsparseL12ell2csr_fillILj256EfilEEvT2_S1_S1_PKS1_PKT0_21rocsparse_index_base_PKT1_PS1_PS4_S7_,@function
_ZN9rocsparseL12ell2csr_fillILj256EfilEEvT2_S1_S1_PKS1_PKT0_21rocsparse_index_base_PKT1_PS1_PS4_S7_: ; @_ZN9rocsparseL12ell2csr_fillILj256EfilEEvT2_S1_S1_PKS1_PKT0_21rocsparse_index_base_PKT1_PS1_PS4_S7_
; %bb.0:
	s_clause 0x1
	s_load_b128 s[4:7], s[0:1], 0x0
	s_load_b64 s[16:17], s[0:1], 0x10
	v_mov_b32_e32 v1, 0
	v_lshl_or_b32 v0, s15, 8, v0
	s_waitcnt lgkmcnt(0)
	s_delay_alu instid0(VALU_DEP_1) | instskip(SKIP_1) | instid1(VALU_DEP_1)
	v_cmp_gt_i64_e32 vcc_lo, s[4:5], v[0:1]
	v_cmp_gt_i64_e64 s2, s[16:17], 0
	s_and_b32 s2, vcc_lo, s2
	s_delay_alu instid0(SALU_CYCLE_1)
	s_and_saveexec_b32 s3, s2
	s_cbranch_execz .LBB8_5
; %bb.1:
	s_load_b128 s[8:11], s[0:1], 0x30
	v_lshlrev_b64 v[1:2], 2, v[0:1]
	s_mov_b32 s18, 0
	s_waitcnt lgkmcnt(0)
	s_delay_alu instid0(VALU_DEP_1) | instskip(NEXT) | instid1(VALU_DEP_2)
	v_add_co_u32 v1, vcc_lo, s8, v1
	v_add_co_ci_u32_e32 v2, vcc_lo, s9, v2, vcc_lo
	s_add_u32 s8, s16, -1
	s_addc_u32 s9, s17, -1
	global_load_b32 v1, v[1:2], off
	s_clause 0x3
	s_load_b32 s5, s[0:1], 0x48
	s_load_b64 s[2:3], s[0:1], 0x40
	s_load_b128 s[12:15], s[0:1], 0x18
	s_load_b32 s1, s[0:1], 0x28
	s_waitcnt vmcnt(0) lgkmcnt(0)
	v_subrev_nc_u32_e32 v2, s5, v1
	s_branch .LBB8_3
.LBB8_2:                                ;   in Loop: Header=BB8_3 Depth=1
	s_or_b32 exec_lo, exec_lo, s16
	s_cmp_eq_u64 s[8:9], 0
	v_add_nc_u32_e32 v0, s4, v0
	s_cselect_b32 s16, -1, 0
	s_delay_alu instid0(SALU_CYCLE_1) | instskip(SKIP_3) | instid1(SALU_CYCLE_1)
	s_or_b32 s0, s0, s16
	s_add_u32 s8, s8, -1
	s_addc_u32 s9, s9, -1
	s_and_b32 s0, exec_lo, s0
	s_or_b32 s18, s0, s18
	s_delay_alu instid0(SALU_CYCLE_1)
	s_and_not1_b32 exec_lo, exec_lo, s18
	s_cbranch_execz .LBB8_5
.LBB8_3:                                ; =>This Inner Loop Header: Depth=1
	v_ashrrev_i32_e32 v1, 31, v0
	s_delay_alu instid0(VALU_DEP_1) | instskip(NEXT) | instid1(VALU_DEP_1)
	v_lshlrev_b64 v[3:4], 3, v[0:1]
	v_add_co_u32 v3, vcc_lo, s12, v3
	s_delay_alu instid0(VALU_DEP_2) | instskip(SKIP_4) | instid1(VALU_DEP_1)
	v_add_co_ci_u32_e32 v4, vcc_lo, s13, v4, vcc_lo
	global_load_b64 v[4:5], v[3:4], off
	s_waitcnt vmcnt(0)
	v_sub_co_u32 v4, vcc_lo, v4, s1
	v_subrev_co_ci_u32_e32 v5, vcc_lo, 0, v5, vcc_lo
	v_cmp_gt_i64_e32 vcc_lo, 0, v[4:5]
	v_cmp_le_i64_e64 s0, s[6:7], v[4:5]
	s_delay_alu instid0(VALU_DEP_1) | instskip(NEXT) | instid1(SALU_CYCLE_1)
	s_or_b32 s0, vcc_lo, s0
	s_xor_b32 s17, s0, -1
	s_delay_alu instid0(SALU_CYCLE_1)
	s_and_saveexec_b32 s16, s17
	s_cbranch_execz .LBB8_2
; %bb.4:                                ;   in Loop: Header=BB8_3 Depth=1
	v_lshlrev_b64 v[6:7], 2, v[0:1]
	v_ashrrev_i32_e32 v3, 31, v2
	v_add_nc_u32_e32 v11, 1, v2
	s_delay_alu instid0(VALU_DEP_3) | instskip(NEXT) | instid1(VALU_DEP_4)
	v_add_co_u32 v6, vcc_lo, s14, v6
	v_add_co_ci_u32_e32 v7, vcc_lo, s15, v7, vcc_lo
	global_load_b32 v10, v[6:7], off
	v_lshlrev_b64 v[6:7], 3, v[2:3]
	v_lshlrev_b64 v[1:2], 2, v[2:3]
	s_delay_alu instid0(VALU_DEP_2) | instskip(NEXT) | instid1(VALU_DEP_3)
	v_add_co_u32 v6, vcc_lo, s10, v6
	v_add_co_ci_u32_e32 v7, vcc_lo, s11, v7, vcc_lo
	v_add_co_u32 v3, vcc_lo, v4, s5
	v_add_co_ci_u32_e32 v4, vcc_lo, 0, v5, vcc_lo
	;; [unrolled: 2-line block ×3, first 2 shown]
	v_mov_b32_e32 v2, v11
	global_store_b64 v[6:7], v[3:4], off
	s_waitcnt vmcnt(0)
	global_store_b32 v[8:9], v10, off
	s_branch .LBB8_2
.LBB8_5:
	s_nop 0
	s_sendmsg sendmsg(MSG_DEALLOC_VGPRS)
	s_endpgm
	.section	.rodata,"a",@progbits
	.p2align	6, 0x0
	.amdhsa_kernel _ZN9rocsparseL12ell2csr_fillILj256EfilEEvT2_S1_S1_PKS1_PKT0_21rocsparse_index_base_PKT1_PS1_PS4_S7_
		.amdhsa_group_segment_fixed_size 0
		.amdhsa_private_segment_fixed_size 0
		.amdhsa_kernarg_size 76
		.amdhsa_user_sgpr_count 15
		.amdhsa_user_sgpr_dispatch_ptr 0
		.amdhsa_user_sgpr_queue_ptr 0
		.amdhsa_user_sgpr_kernarg_segment_ptr 1
		.amdhsa_user_sgpr_dispatch_id 0
		.amdhsa_user_sgpr_private_segment_size 0
		.amdhsa_wavefront_size32 1
		.amdhsa_uses_dynamic_stack 0
		.amdhsa_enable_private_segment 0
		.amdhsa_system_sgpr_workgroup_id_x 1
		.amdhsa_system_sgpr_workgroup_id_y 0
		.amdhsa_system_sgpr_workgroup_id_z 0
		.amdhsa_system_sgpr_workgroup_info 0
		.amdhsa_system_vgpr_workitem_id 0
		.amdhsa_next_free_vgpr 12
		.amdhsa_next_free_sgpr 19
		.amdhsa_reserve_vcc 1
		.amdhsa_float_round_mode_32 0
		.amdhsa_float_round_mode_16_64 0
		.amdhsa_float_denorm_mode_32 3
		.amdhsa_float_denorm_mode_16_64 3
		.amdhsa_dx10_clamp 1
		.amdhsa_ieee_mode 1
		.amdhsa_fp16_overflow 0
		.amdhsa_workgroup_processor_mode 1
		.amdhsa_memory_ordered 1
		.amdhsa_forward_progress 0
		.amdhsa_shared_vgpr_count 0
		.amdhsa_exception_fp_ieee_invalid_op 0
		.amdhsa_exception_fp_denorm_src 0
		.amdhsa_exception_fp_ieee_div_zero 0
		.amdhsa_exception_fp_ieee_overflow 0
		.amdhsa_exception_fp_ieee_underflow 0
		.amdhsa_exception_fp_ieee_inexact 0
		.amdhsa_exception_int_div_zero 0
	.end_amdhsa_kernel
	.section	.text._ZN9rocsparseL12ell2csr_fillILj256EfilEEvT2_S1_S1_PKS1_PKT0_21rocsparse_index_base_PKT1_PS1_PS4_S7_,"axG",@progbits,_ZN9rocsparseL12ell2csr_fillILj256EfilEEvT2_S1_S1_PKS1_PKT0_21rocsparse_index_base_PKT1_PS1_PS4_S7_,comdat
.Lfunc_end8:
	.size	_ZN9rocsparseL12ell2csr_fillILj256EfilEEvT2_S1_S1_PKS1_PKT0_21rocsparse_index_base_PKT1_PS1_PS4_S7_, .Lfunc_end8-_ZN9rocsparseL12ell2csr_fillILj256EfilEEvT2_S1_S1_PKS1_PKT0_21rocsparse_index_base_PKT1_PS1_PS4_S7_
                                        ; -- End function
	.section	.AMDGPU.csdata,"",@progbits
; Kernel info:
; codeLenInByte = 452
; NumSgprs: 21
; NumVgprs: 12
; ScratchSize: 0
; MemoryBound: 0
; FloatMode: 240
; IeeeMode: 1
; LDSByteSize: 0 bytes/workgroup (compile time only)
; SGPRBlocks: 2
; VGPRBlocks: 1
; NumSGPRsForWavesPerEU: 21
; NumVGPRsForWavesPerEU: 12
; Occupancy: 16
; WaveLimiterHint : 0
; COMPUTE_PGM_RSRC2:SCRATCH_EN: 0
; COMPUTE_PGM_RSRC2:USER_SGPR: 15
; COMPUTE_PGM_RSRC2:TRAP_HANDLER: 0
; COMPUTE_PGM_RSRC2:TGID_X_EN: 1
; COMPUTE_PGM_RSRC2:TGID_Y_EN: 0
; COMPUTE_PGM_RSRC2:TGID_Z_EN: 0
; COMPUTE_PGM_RSRC2:TIDIG_COMP_CNT: 0
	.section	.text._ZN9rocsparseL12ell2csr_fillILj256E21rocsparse_complex_numIfEilEEvT2_S3_S3_PKS3_PKT0_21rocsparse_index_base_PKT1_PS3_PS6_S9_,"axG",@progbits,_ZN9rocsparseL12ell2csr_fillILj256E21rocsparse_complex_numIfEilEEvT2_S3_S3_PKS3_PKT0_21rocsparse_index_base_PKT1_PS3_PS6_S9_,comdat
	.globl	_ZN9rocsparseL12ell2csr_fillILj256E21rocsparse_complex_numIfEilEEvT2_S3_S3_PKS3_PKT0_21rocsparse_index_base_PKT1_PS3_PS6_S9_ ; -- Begin function _ZN9rocsparseL12ell2csr_fillILj256E21rocsparse_complex_numIfEilEEvT2_S3_S3_PKS3_PKT0_21rocsparse_index_base_PKT1_PS3_PS6_S9_
	.p2align	8
	.type	_ZN9rocsparseL12ell2csr_fillILj256E21rocsparse_complex_numIfEilEEvT2_S3_S3_PKS3_PKT0_21rocsparse_index_base_PKT1_PS3_PS6_S9_,@function
_ZN9rocsparseL12ell2csr_fillILj256E21rocsparse_complex_numIfEilEEvT2_S3_S3_PKS3_PKT0_21rocsparse_index_base_PKT1_PS3_PS6_S9_: ; @_ZN9rocsparseL12ell2csr_fillILj256E21rocsparse_complex_numIfEilEEvT2_S3_S3_PKS3_PKT0_21rocsparse_index_base_PKT1_PS3_PS6_S9_
; %bb.0:
	s_clause 0x1
	s_load_b128 s[4:7], s[0:1], 0x0
	s_load_b64 s[16:17], s[0:1], 0x10
	v_mov_b32_e32 v1, 0
	v_lshl_or_b32 v0, s15, 8, v0
	s_waitcnt lgkmcnt(0)
	s_delay_alu instid0(VALU_DEP_1) | instskip(SKIP_1) | instid1(VALU_DEP_1)
	v_cmp_gt_i64_e32 vcc_lo, s[4:5], v[0:1]
	v_cmp_gt_i64_e64 s2, s[16:17], 0
	s_and_b32 s2, vcc_lo, s2
	s_delay_alu instid0(SALU_CYCLE_1)
	s_and_saveexec_b32 s3, s2
	s_cbranch_execz .LBB9_5
; %bb.1:
	s_load_b128 s[8:11], s[0:1], 0x30
	v_lshlrev_b64 v[1:2], 2, v[0:1]
	s_mov_b32 s18, 0
	s_waitcnt lgkmcnt(0)
	s_delay_alu instid0(VALU_DEP_1) | instskip(NEXT) | instid1(VALU_DEP_2)
	v_add_co_u32 v1, vcc_lo, s8, v1
	v_add_co_ci_u32_e32 v2, vcc_lo, s9, v2, vcc_lo
	s_add_u32 s8, s16, -1
	s_addc_u32 s9, s17, -1
	global_load_b32 v1, v[1:2], off
	s_clause 0x3
	s_load_b32 s5, s[0:1], 0x48
	s_load_b64 s[2:3], s[0:1], 0x40
	s_load_b128 s[12:15], s[0:1], 0x18
	s_load_b32 s1, s[0:1], 0x28
	s_waitcnt vmcnt(0) lgkmcnt(0)
	v_subrev_nc_u32_e32 v2, s5, v1
	s_branch .LBB9_3
.LBB9_2:                                ;   in Loop: Header=BB9_3 Depth=1
	s_or_b32 exec_lo, exec_lo, s16
	s_cmp_eq_u64 s[8:9], 0
	v_add_nc_u32_e32 v0, s4, v0
	s_cselect_b32 s16, -1, 0
	s_delay_alu instid0(SALU_CYCLE_1) | instskip(SKIP_3) | instid1(SALU_CYCLE_1)
	s_or_b32 s0, s0, s16
	s_add_u32 s8, s8, -1
	s_addc_u32 s9, s9, -1
	s_and_b32 s0, exec_lo, s0
	s_or_b32 s18, s0, s18
	s_delay_alu instid0(SALU_CYCLE_1)
	s_and_not1_b32 exec_lo, exec_lo, s18
	s_cbranch_execz .LBB9_5
.LBB9_3:                                ; =>This Inner Loop Header: Depth=1
	v_ashrrev_i32_e32 v1, 31, v0
	s_delay_alu instid0(VALU_DEP_1) | instskip(NEXT) | instid1(VALU_DEP_1)
	v_lshlrev_b64 v[6:7], 3, v[0:1]
	v_add_co_u32 v3, vcc_lo, s12, v6
	s_delay_alu instid0(VALU_DEP_2) | instskip(SKIP_4) | instid1(VALU_DEP_1)
	v_add_co_ci_u32_e32 v4, vcc_lo, s13, v7, vcc_lo
	global_load_b64 v[4:5], v[3:4], off
	s_waitcnt vmcnt(0)
	v_sub_co_u32 v4, vcc_lo, v4, s1
	v_subrev_co_ci_u32_e32 v5, vcc_lo, 0, v5, vcc_lo
	v_cmp_gt_i64_e32 vcc_lo, 0, v[4:5]
	v_cmp_le_i64_e64 s0, s[6:7], v[4:5]
	s_delay_alu instid0(VALU_DEP_1) | instskip(NEXT) | instid1(SALU_CYCLE_1)
	s_or_b32 s0, vcc_lo, s0
	s_xor_b32 s17, s0, -1
	s_delay_alu instid0(SALU_CYCLE_1)
	s_and_saveexec_b32 s16, s17
	s_cbranch_execz .LBB9_2
; %bb.4:                                ;   in Loop: Header=BB9_3 Depth=1
	v_add_co_u32 v6, vcc_lo, s14, v6
	v_add_co_ci_u32_e32 v7, vcc_lo, s15, v7, vcc_lo
	v_ashrrev_i32_e32 v3, 31, v2
	global_load_b64 v[6:7], v[6:7], off
	v_lshlrev_b64 v[8:9], 3, v[2:3]
	v_add_nc_u32_e32 v2, 1, v2
	s_delay_alu instid0(VALU_DEP_2) | instskip(NEXT) | instid1(VALU_DEP_3)
	v_add_co_u32 v10, vcc_lo, s10, v8
	v_add_co_ci_u32_e32 v11, vcc_lo, s11, v9, vcc_lo
	v_add_co_u32 v3, vcc_lo, v4, s5
	v_add_co_ci_u32_e32 v4, vcc_lo, 0, v5, vcc_lo
	;; [unrolled: 2-line block ×3, first 2 shown]
	global_store_b64 v[10:11], v[3:4], off
	s_waitcnt vmcnt(0)
	global_store_b64 v[8:9], v[6:7], off
	s_branch .LBB9_2
.LBB9_5:
	s_nop 0
	s_sendmsg sendmsg(MSG_DEALLOC_VGPRS)
	s_endpgm
	.section	.rodata,"a",@progbits
	.p2align	6, 0x0
	.amdhsa_kernel _ZN9rocsparseL12ell2csr_fillILj256E21rocsparse_complex_numIfEilEEvT2_S3_S3_PKS3_PKT0_21rocsparse_index_base_PKT1_PS3_PS6_S9_
		.amdhsa_group_segment_fixed_size 0
		.amdhsa_private_segment_fixed_size 0
		.amdhsa_kernarg_size 76
		.amdhsa_user_sgpr_count 15
		.amdhsa_user_sgpr_dispatch_ptr 0
		.amdhsa_user_sgpr_queue_ptr 0
		.amdhsa_user_sgpr_kernarg_segment_ptr 1
		.amdhsa_user_sgpr_dispatch_id 0
		.amdhsa_user_sgpr_private_segment_size 0
		.amdhsa_wavefront_size32 1
		.amdhsa_uses_dynamic_stack 0
		.amdhsa_enable_private_segment 0
		.amdhsa_system_sgpr_workgroup_id_x 1
		.amdhsa_system_sgpr_workgroup_id_y 0
		.amdhsa_system_sgpr_workgroup_id_z 0
		.amdhsa_system_sgpr_workgroup_info 0
		.amdhsa_system_vgpr_workitem_id 0
		.amdhsa_next_free_vgpr 12
		.amdhsa_next_free_sgpr 19
		.amdhsa_reserve_vcc 1
		.amdhsa_float_round_mode_32 0
		.amdhsa_float_round_mode_16_64 0
		.amdhsa_float_denorm_mode_32 3
		.amdhsa_float_denorm_mode_16_64 3
		.amdhsa_dx10_clamp 1
		.amdhsa_ieee_mode 1
		.amdhsa_fp16_overflow 0
		.amdhsa_workgroup_processor_mode 1
		.amdhsa_memory_ordered 1
		.amdhsa_forward_progress 0
		.amdhsa_shared_vgpr_count 0
		.amdhsa_exception_fp_ieee_invalid_op 0
		.amdhsa_exception_fp_denorm_src 0
		.amdhsa_exception_fp_ieee_div_zero 0
		.amdhsa_exception_fp_ieee_overflow 0
		.amdhsa_exception_fp_ieee_underflow 0
		.amdhsa_exception_fp_ieee_inexact 0
		.amdhsa_exception_int_div_zero 0
	.end_amdhsa_kernel
	.section	.text._ZN9rocsparseL12ell2csr_fillILj256E21rocsparse_complex_numIfEilEEvT2_S3_S3_PKS3_PKT0_21rocsparse_index_base_PKT1_PS3_PS6_S9_,"axG",@progbits,_ZN9rocsparseL12ell2csr_fillILj256E21rocsparse_complex_numIfEilEEvT2_S3_S3_PKS3_PKT0_21rocsparse_index_base_PKT1_PS3_PS6_S9_,comdat
.Lfunc_end9:
	.size	_ZN9rocsparseL12ell2csr_fillILj256E21rocsparse_complex_numIfEilEEvT2_S3_S3_PKS3_PKT0_21rocsparse_index_base_PKT1_PS3_PS6_S9_, .Lfunc_end9-_ZN9rocsparseL12ell2csr_fillILj256E21rocsparse_complex_numIfEilEEvT2_S3_S3_PKS3_PKT0_21rocsparse_index_base_PKT1_PS3_PS6_S9_
                                        ; -- End function
	.section	.AMDGPU.csdata,"",@progbits
; Kernel info:
; codeLenInByte = 428
; NumSgprs: 21
; NumVgprs: 12
; ScratchSize: 0
; MemoryBound: 0
; FloatMode: 240
; IeeeMode: 1
; LDSByteSize: 0 bytes/workgroup (compile time only)
; SGPRBlocks: 2
; VGPRBlocks: 1
; NumSGPRsForWavesPerEU: 21
; NumVGPRsForWavesPerEU: 12
; Occupancy: 16
; WaveLimiterHint : 0
; COMPUTE_PGM_RSRC2:SCRATCH_EN: 0
; COMPUTE_PGM_RSRC2:USER_SGPR: 15
; COMPUTE_PGM_RSRC2:TRAP_HANDLER: 0
; COMPUTE_PGM_RSRC2:TGID_X_EN: 1
; COMPUTE_PGM_RSRC2:TGID_Y_EN: 0
; COMPUTE_PGM_RSRC2:TGID_Z_EN: 0
; COMPUTE_PGM_RSRC2:TIDIG_COMP_CNT: 0
	.section	.text._ZN9rocsparseL12ell2csr_fillILj256EdilEEvT2_S1_S1_PKS1_PKT0_21rocsparse_index_base_PKT1_PS1_PS4_S7_,"axG",@progbits,_ZN9rocsparseL12ell2csr_fillILj256EdilEEvT2_S1_S1_PKS1_PKT0_21rocsparse_index_base_PKT1_PS1_PS4_S7_,comdat
	.globl	_ZN9rocsparseL12ell2csr_fillILj256EdilEEvT2_S1_S1_PKS1_PKT0_21rocsparse_index_base_PKT1_PS1_PS4_S7_ ; -- Begin function _ZN9rocsparseL12ell2csr_fillILj256EdilEEvT2_S1_S1_PKS1_PKT0_21rocsparse_index_base_PKT1_PS1_PS4_S7_
	.p2align	8
	.type	_ZN9rocsparseL12ell2csr_fillILj256EdilEEvT2_S1_S1_PKS1_PKT0_21rocsparse_index_base_PKT1_PS1_PS4_S7_,@function
_ZN9rocsparseL12ell2csr_fillILj256EdilEEvT2_S1_S1_PKS1_PKT0_21rocsparse_index_base_PKT1_PS1_PS4_S7_: ; @_ZN9rocsparseL12ell2csr_fillILj256EdilEEvT2_S1_S1_PKS1_PKT0_21rocsparse_index_base_PKT1_PS1_PS4_S7_
; %bb.0:
	s_clause 0x1
	s_load_b128 s[4:7], s[0:1], 0x0
	s_load_b64 s[16:17], s[0:1], 0x10
	v_mov_b32_e32 v1, 0
	v_lshl_or_b32 v0, s15, 8, v0
	s_waitcnt lgkmcnt(0)
	s_delay_alu instid0(VALU_DEP_1) | instskip(SKIP_1) | instid1(VALU_DEP_1)
	v_cmp_gt_i64_e32 vcc_lo, s[4:5], v[0:1]
	v_cmp_gt_i64_e64 s2, s[16:17], 0
	s_and_b32 s2, vcc_lo, s2
	s_delay_alu instid0(SALU_CYCLE_1)
	s_and_saveexec_b32 s3, s2
	s_cbranch_execz .LBB10_5
; %bb.1:
	s_load_b128 s[8:11], s[0:1], 0x30
	v_lshlrev_b64 v[1:2], 2, v[0:1]
	s_mov_b32 s18, 0
	s_waitcnt lgkmcnt(0)
	s_delay_alu instid0(VALU_DEP_1) | instskip(NEXT) | instid1(VALU_DEP_2)
	v_add_co_u32 v1, vcc_lo, s8, v1
	v_add_co_ci_u32_e32 v2, vcc_lo, s9, v2, vcc_lo
	s_add_u32 s8, s16, -1
	s_addc_u32 s9, s17, -1
	global_load_b32 v1, v[1:2], off
	s_clause 0x3
	s_load_b32 s5, s[0:1], 0x48
	s_load_b64 s[2:3], s[0:1], 0x40
	s_load_b128 s[12:15], s[0:1], 0x18
	s_load_b32 s1, s[0:1], 0x28
	s_waitcnt vmcnt(0) lgkmcnt(0)
	v_subrev_nc_u32_e32 v2, s5, v1
	s_branch .LBB10_3
.LBB10_2:                               ;   in Loop: Header=BB10_3 Depth=1
	s_or_b32 exec_lo, exec_lo, s16
	s_cmp_eq_u64 s[8:9], 0
	v_add_nc_u32_e32 v0, s4, v0
	s_cselect_b32 s16, -1, 0
	s_delay_alu instid0(SALU_CYCLE_1) | instskip(SKIP_3) | instid1(SALU_CYCLE_1)
	s_or_b32 s0, s0, s16
	s_add_u32 s8, s8, -1
	s_addc_u32 s9, s9, -1
	s_and_b32 s0, exec_lo, s0
	s_or_b32 s18, s0, s18
	s_delay_alu instid0(SALU_CYCLE_1)
	s_and_not1_b32 exec_lo, exec_lo, s18
	s_cbranch_execz .LBB10_5
.LBB10_3:                               ; =>This Inner Loop Header: Depth=1
	v_ashrrev_i32_e32 v1, 31, v0
	s_delay_alu instid0(VALU_DEP_1) | instskip(NEXT) | instid1(VALU_DEP_1)
	v_lshlrev_b64 v[6:7], 3, v[0:1]
	v_add_co_u32 v3, vcc_lo, s12, v6
	s_delay_alu instid0(VALU_DEP_2) | instskip(SKIP_4) | instid1(VALU_DEP_1)
	v_add_co_ci_u32_e32 v4, vcc_lo, s13, v7, vcc_lo
	global_load_b64 v[4:5], v[3:4], off
	s_waitcnt vmcnt(0)
	v_sub_co_u32 v4, vcc_lo, v4, s1
	v_subrev_co_ci_u32_e32 v5, vcc_lo, 0, v5, vcc_lo
	v_cmp_gt_i64_e32 vcc_lo, 0, v[4:5]
	v_cmp_le_i64_e64 s0, s[6:7], v[4:5]
	s_delay_alu instid0(VALU_DEP_1) | instskip(NEXT) | instid1(SALU_CYCLE_1)
	s_or_b32 s0, vcc_lo, s0
	s_xor_b32 s17, s0, -1
	s_delay_alu instid0(SALU_CYCLE_1)
	s_and_saveexec_b32 s16, s17
	s_cbranch_execz .LBB10_2
; %bb.4:                                ;   in Loop: Header=BB10_3 Depth=1
	v_add_co_u32 v6, vcc_lo, s14, v6
	v_add_co_ci_u32_e32 v7, vcc_lo, s15, v7, vcc_lo
	v_ashrrev_i32_e32 v3, 31, v2
	global_load_b64 v[6:7], v[6:7], off
	v_lshlrev_b64 v[8:9], 3, v[2:3]
	v_add_nc_u32_e32 v2, 1, v2
	s_delay_alu instid0(VALU_DEP_2) | instskip(NEXT) | instid1(VALU_DEP_3)
	v_add_co_u32 v10, vcc_lo, s10, v8
	v_add_co_ci_u32_e32 v11, vcc_lo, s11, v9, vcc_lo
	v_add_co_u32 v3, vcc_lo, v4, s5
	v_add_co_ci_u32_e32 v4, vcc_lo, 0, v5, vcc_lo
	;; [unrolled: 2-line block ×3, first 2 shown]
	global_store_b64 v[10:11], v[3:4], off
	s_waitcnt vmcnt(0)
	global_store_b64 v[8:9], v[6:7], off
	s_branch .LBB10_2
.LBB10_5:
	s_nop 0
	s_sendmsg sendmsg(MSG_DEALLOC_VGPRS)
	s_endpgm
	.section	.rodata,"a",@progbits
	.p2align	6, 0x0
	.amdhsa_kernel _ZN9rocsparseL12ell2csr_fillILj256EdilEEvT2_S1_S1_PKS1_PKT0_21rocsparse_index_base_PKT1_PS1_PS4_S7_
		.amdhsa_group_segment_fixed_size 0
		.amdhsa_private_segment_fixed_size 0
		.amdhsa_kernarg_size 76
		.amdhsa_user_sgpr_count 15
		.amdhsa_user_sgpr_dispatch_ptr 0
		.amdhsa_user_sgpr_queue_ptr 0
		.amdhsa_user_sgpr_kernarg_segment_ptr 1
		.amdhsa_user_sgpr_dispatch_id 0
		.amdhsa_user_sgpr_private_segment_size 0
		.amdhsa_wavefront_size32 1
		.amdhsa_uses_dynamic_stack 0
		.amdhsa_enable_private_segment 0
		.amdhsa_system_sgpr_workgroup_id_x 1
		.amdhsa_system_sgpr_workgroup_id_y 0
		.amdhsa_system_sgpr_workgroup_id_z 0
		.amdhsa_system_sgpr_workgroup_info 0
		.amdhsa_system_vgpr_workitem_id 0
		.amdhsa_next_free_vgpr 12
		.amdhsa_next_free_sgpr 19
		.amdhsa_reserve_vcc 1
		.amdhsa_float_round_mode_32 0
		.amdhsa_float_round_mode_16_64 0
		.amdhsa_float_denorm_mode_32 3
		.amdhsa_float_denorm_mode_16_64 3
		.amdhsa_dx10_clamp 1
		.amdhsa_ieee_mode 1
		.amdhsa_fp16_overflow 0
		.amdhsa_workgroup_processor_mode 1
		.amdhsa_memory_ordered 1
		.amdhsa_forward_progress 0
		.amdhsa_shared_vgpr_count 0
		.amdhsa_exception_fp_ieee_invalid_op 0
		.amdhsa_exception_fp_denorm_src 0
		.amdhsa_exception_fp_ieee_div_zero 0
		.amdhsa_exception_fp_ieee_overflow 0
		.amdhsa_exception_fp_ieee_underflow 0
		.amdhsa_exception_fp_ieee_inexact 0
		.amdhsa_exception_int_div_zero 0
	.end_amdhsa_kernel
	.section	.text._ZN9rocsparseL12ell2csr_fillILj256EdilEEvT2_S1_S1_PKS1_PKT0_21rocsparse_index_base_PKT1_PS1_PS4_S7_,"axG",@progbits,_ZN9rocsparseL12ell2csr_fillILj256EdilEEvT2_S1_S1_PKS1_PKT0_21rocsparse_index_base_PKT1_PS1_PS4_S7_,comdat
.Lfunc_end10:
	.size	_ZN9rocsparseL12ell2csr_fillILj256EdilEEvT2_S1_S1_PKS1_PKT0_21rocsparse_index_base_PKT1_PS1_PS4_S7_, .Lfunc_end10-_ZN9rocsparseL12ell2csr_fillILj256EdilEEvT2_S1_S1_PKS1_PKT0_21rocsparse_index_base_PKT1_PS1_PS4_S7_
                                        ; -- End function
	.section	.AMDGPU.csdata,"",@progbits
; Kernel info:
; codeLenInByte = 428
; NumSgprs: 21
; NumVgprs: 12
; ScratchSize: 0
; MemoryBound: 0
; FloatMode: 240
; IeeeMode: 1
; LDSByteSize: 0 bytes/workgroup (compile time only)
; SGPRBlocks: 2
; VGPRBlocks: 1
; NumSGPRsForWavesPerEU: 21
; NumVGPRsForWavesPerEU: 12
; Occupancy: 16
; WaveLimiterHint : 0
; COMPUTE_PGM_RSRC2:SCRATCH_EN: 0
; COMPUTE_PGM_RSRC2:USER_SGPR: 15
; COMPUTE_PGM_RSRC2:TRAP_HANDLER: 0
; COMPUTE_PGM_RSRC2:TGID_X_EN: 1
; COMPUTE_PGM_RSRC2:TGID_Y_EN: 0
; COMPUTE_PGM_RSRC2:TGID_Z_EN: 0
; COMPUTE_PGM_RSRC2:TIDIG_COMP_CNT: 0
	.section	.text._ZN9rocsparseL12ell2csr_fillILj256E21rocsparse_complex_numIdEilEEvT2_S3_S3_PKS3_PKT0_21rocsparse_index_base_PKT1_PS3_PS6_S9_,"axG",@progbits,_ZN9rocsparseL12ell2csr_fillILj256E21rocsparse_complex_numIdEilEEvT2_S3_S3_PKS3_PKT0_21rocsparse_index_base_PKT1_PS3_PS6_S9_,comdat
	.globl	_ZN9rocsparseL12ell2csr_fillILj256E21rocsparse_complex_numIdEilEEvT2_S3_S3_PKS3_PKT0_21rocsparse_index_base_PKT1_PS3_PS6_S9_ ; -- Begin function _ZN9rocsparseL12ell2csr_fillILj256E21rocsparse_complex_numIdEilEEvT2_S3_S3_PKS3_PKT0_21rocsparse_index_base_PKT1_PS3_PS6_S9_
	.p2align	8
	.type	_ZN9rocsparseL12ell2csr_fillILj256E21rocsparse_complex_numIdEilEEvT2_S3_S3_PKS3_PKT0_21rocsparse_index_base_PKT1_PS3_PS6_S9_,@function
_ZN9rocsparseL12ell2csr_fillILj256E21rocsparse_complex_numIdEilEEvT2_S3_S3_PKS3_PKT0_21rocsparse_index_base_PKT1_PS3_PS6_S9_: ; @_ZN9rocsparseL12ell2csr_fillILj256E21rocsparse_complex_numIdEilEEvT2_S3_S3_PKS3_PKT0_21rocsparse_index_base_PKT1_PS3_PS6_S9_
; %bb.0:
	s_clause 0x1
	s_load_b128 s[4:7], s[0:1], 0x0
	s_load_b64 s[16:17], s[0:1], 0x10
	v_mov_b32_e32 v1, 0
	v_lshl_or_b32 v0, s15, 8, v0
	s_waitcnt lgkmcnt(0)
	s_delay_alu instid0(VALU_DEP_1) | instskip(SKIP_1) | instid1(VALU_DEP_1)
	v_cmp_gt_i64_e32 vcc_lo, s[4:5], v[0:1]
	v_cmp_gt_i64_e64 s2, s[16:17], 0
	s_and_b32 s2, vcc_lo, s2
	s_delay_alu instid0(SALU_CYCLE_1)
	s_and_saveexec_b32 s3, s2
	s_cbranch_execz .LBB11_5
; %bb.1:
	s_load_b128 s[8:11], s[0:1], 0x30
	v_lshlrev_b64 v[1:2], 2, v[0:1]
	s_mov_b32 s18, 0
	s_waitcnt lgkmcnt(0)
	s_delay_alu instid0(VALU_DEP_1) | instskip(NEXT) | instid1(VALU_DEP_2)
	v_add_co_u32 v1, vcc_lo, s8, v1
	v_add_co_ci_u32_e32 v2, vcc_lo, s9, v2, vcc_lo
	s_add_u32 s8, s16, -1
	s_addc_u32 s9, s17, -1
	global_load_b32 v1, v[1:2], off
	s_clause 0x3
	s_load_b32 s5, s[0:1], 0x48
	s_load_b64 s[2:3], s[0:1], 0x40
	s_load_b128 s[12:15], s[0:1], 0x18
	s_load_b32 s1, s[0:1], 0x28
	s_waitcnt vmcnt(0) lgkmcnt(0)
	v_subrev_nc_u32_e32 v2, s5, v1
	s_branch .LBB11_3
.LBB11_2:                               ;   in Loop: Header=BB11_3 Depth=1
	s_or_b32 exec_lo, exec_lo, s16
	s_cmp_eq_u64 s[8:9], 0
	v_add_nc_u32_e32 v0, s4, v0
	s_cselect_b32 s16, -1, 0
	s_delay_alu instid0(SALU_CYCLE_1) | instskip(SKIP_3) | instid1(SALU_CYCLE_1)
	s_or_b32 s0, s0, s16
	s_add_u32 s8, s8, -1
	s_addc_u32 s9, s9, -1
	s_and_b32 s0, exec_lo, s0
	s_or_b32 s18, s0, s18
	s_delay_alu instid0(SALU_CYCLE_1)
	s_and_not1_b32 exec_lo, exec_lo, s18
	s_cbranch_execz .LBB11_5
.LBB11_3:                               ; =>This Inner Loop Header: Depth=1
	v_ashrrev_i32_e32 v1, 31, v0
	s_delay_alu instid0(VALU_DEP_1) | instskip(NEXT) | instid1(VALU_DEP_1)
	v_lshlrev_b64 v[3:4], 3, v[0:1]
	v_add_co_u32 v3, vcc_lo, s12, v3
	s_delay_alu instid0(VALU_DEP_2) | instskip(SKIP_4) | instid1(VALU_DEP_1)
	v_add_co_ci_u32_e32 v4, vcc_lo, s13, v4, vcc_lo
	global_load_b64 v[4:5], v[3:4], off
	s_waitcnt vmcnt(0)
	v_sub_co_u32 v4, vcc_lo, v4, s1
	v_subrev_co_ci_u32_e32 v5, vcc_lo, 0, v5, vcc_lo
	v_cmp_gt_i64_e32 vcc_lo, 0, v[4:5]
	v_cmp_le_i64_e64 s0, s[6:7], v[4:5]
	s_delay_alu instid0(VALU_DEP_1) | instskip(NEXT) | instid1(SALU_CYCLE_1)
	s_or_b32 s0, vcc_lo, s0
	s_xor_b32 s17, s0, -1
	s_delay_alu instid0(SALU_CYCLE_1)
	s_and_saveexec_b32 s16, s17
	s_cbranch_execz .LBB11_2
; %bb.4:                                ;   in Loop: Header=BB11_3 Depth=1
	v_lshlrev_b64 v[6:7], 4, v[0:1]
	v_ashrrev_i32_e32 v3, 31, v2
	v_add_nc_u32_e32 v14, 1, v2
	s_delay_alu instid0(VALU_DEP_2) | instskip(NEXT) | instid1(VALU_DEP_4)
	v_lshlrev_b64 v[10:11], 3, v[2:3]
	v_add_co_u32 v6, vcc_lo, s14, v6
	v_add_co_ci_u32_e32 v7, vcc_lo, s15, v7, vcc_lo
	v_lshlrev_b64 v[1:2], 4, v[2:3]
	s_delay_alu instid0(VALU_DEP_4)
	v_add_co_u32 v10, vcc_lo, s10, v10
	global_load_b128 v[6:9], v[6:7], off
	v_add_co_ci_u32_e32 v11, vcc_lo, s11, v11, vcc_lo
	v_add_co_u32 v3, vcc_lo, v4, s5
	v_add_co_ci_u32_e32 v4, vcc_lo, 0, v5, vcc_lo
	v_add_co_u32 v12, vcc_lo, s2, v1
	v_add_co_ci_u32_e32 v13, vcc_lo, s3, v2, vcc_lo
	v_mov_b32_e32 v2, v14
	global_store_b64 v[10:11], v[3:4], off
	s_waitcnt vmcnt(0)
	global_store_b128 v[12:13], v[6:9], off
	s_branch .LBB11_2
.LBB11_5:
	s_nop 0
	s_sendmsg sendmsg(MSG_DEALLOC_VGPRS)
	s_endpgm
	.section	.rodata,"a",@progbits
	.p2align	6, 0x0
	.amdhsa_kernel _ZN9rocsparseL12ell2csr_fillILj256E21rocsparse_complex_numIdEilEEvT2_S3_S3_PKS3_PKT0_21rocsparse_index_base_PKT1_PS3_PS6_S9_
		.amdhsa_group_segment_fixed_size 0
		.amdhsa_private_segment_fixed_size 0
		.amdhsa_kernarg_size 76
		.amdhsa_user_sgpr_count 15
		.amdhsa_user_sgpr_dispatch_ptr 0
		.amdhsa_user_sgpr_queue_ptr 0
		.amdhsa_user_sgpr_kernarg_segment_ptr 1
		.amdhsa_user_sgpr_dispatch_id 0
		.amdhsa_user_sgpr_private_segment_size 0
		.amdhsa_wavefront_size32 1
		.amdhsa_uses_dynamic_stack 0
		.amdhsa_enable_private_segment 0
		.amdhsa_system_sgpr_workgroup_id_x 1
		.amdhsa_system_sgpr_workgroup_id_y 0
		.amdhsa_system_sgpr_workgroup_id_z 0
		.amdhsa_system_sgpr_workgroup_info 0
		.amdhsa_system_vgpr_workitem_id 0
		.amdhsa_next_free_vgpr 15
		.amdhsa_next_free_sgpr 19
		.amdhsa_reserve_vcc 1
		.amdhsa_float_round_mode_32 0
		.amdhsa_float_round_mode_16_64 0
		.amdhsa_float_denorm_mode_32 3
		.amdhsa_float_denorm_mode_16_64 3
		.amdhsa_dx10_clamp 1
		.amdhsa_ieee_mode 1
		.amdhsa_fp16_overflow 0
		.amdhsa_workgroup_processor_mode 1
		.amdhsa_memory_ordered 1
		.amdhsa_forward_progress 0
		.amdhsa_shared_vgpr_count 0
		.amdhsa_exception_fp_ieee_invalid_op 0
		.amdhsa_exception_fp_denorm_src 0
		.amdhsa_exception_fp_ieee_div_zero 0
		.amdhsa_exception_fp_ieee_overflow 0
		.amdhsa_exception_fp_ieee_underflow 0
		.amdhsa_exception_fp_ieee_inexact 0
		.amdhsa_exception_int_div_zero 0
	.end_amdhsa_kernel
	.section	.text._ZN9rocsparseL12ell2csr_fillILj256E21rocsparse_complex_numIdEilEEvT2_S3_S3_PKS3_PKT0_21rocsparse_index_base_PKT1_PS3_PS6_S9_,"axG",@progbits,_ZN9rocsparseL12ell2csr_fillILj256E21rocsparse_complex_numIdEilEEvT2_S3_S3_PKS3_PKT0_21rocsparse_index_base_PKT1_PS3_PS6_S9_,comdat
.Lfunc_end11:
	.size	_ZN9rocsparseL12ell2csr_fillILj256E21rocsparse_complex_numIdEilEEvT2_S3_S3_PKS3_PKT0_21rocsparse_index_base_PKT1_PS3_PS6_S9_, .Lfunc_end11-_ZN9rocsparseL12ell2csr_fillILj256E21rocsparse_complex_numIdEilEEvT2_S3_S3_PKS3_PKT0_21rocsparse_index_base_PKT1_PS3_PS6_S9_
                                        ; -- End function
	.section	.AMDGPU.csdata,"",@progbits
; Kernel info:
; codeLenInByte = 452
; NumSgprs: 21
; NumVgprs: 15
; ScratchSize: 0
; MemoryBound: 0
; FloatMode: 240
; IeeeMode: 1
; LDSByteSize: 0 bytes/workgroup (compile time only)
; SGPRBlocks: 2
; VGPRBlocks: 1
; NumSGPRsForWavesPerEU: 21
; NumVGPRsForWavesPerEU: 15
; Occupancy: 16
; WaveLimiterHint : 0
; COMPUTE_PGM_RSRC2:SCRATCH_EN: 0
; COMPUTE_PGM_RSRC2:USER_SGPR: 15
; COMPUTE_PGM_RSRC2:TRAP_HANDLER: 0
; COMPUTE_PGM_RSRC2:TGID_X_EN: 1
; COMPUTE_PGM_RSRC2:TGID_Y_EN: 0
; COMPUTE_PGM_RSRC2:TGID_Z_EN: 0
; COMPUTE_PGM_RSRC2:TIDIG_COMP_CNT: 0
	.section	.text._ZN9rocsparseL12ell2csr_fillILj256EfllEEvT2_S1_S1_PKS1_PKT0_21rocsparse_index_base_PKT1_PS1_PS4_S7_,"axG",@progbits,_ZN9rocsparseL12ell2csr_fillILj256EfllEEvT2_S1_S1_PKS1_PKT0_21rocsparse_index_base_PKT1_PS1_PS4_S7_,comdat
	.globl	_ZN9rocsparseL12ell2csr_fillILj256EfllEEvT2_S1_S1_PKS1_PKT0_21rocsparse_index_base_PKT1_PS1_PS4_S7_ ; -- Begin function _ZN9rocsparseL12ell2csr_fillILj256EfllEEvT2_S1_S1_PKS1_PKT0_21rocsparse_index_base_PKT1_PS1_PS4_S7_
	.p2align	8
	.type	_ZN9rocsparseL12ell2csr_fillILj256EfllEEvT2_S1_S1_PKS1_PKT0_21rocsparse_index_base_PKT1_PS1_PS4_S7_,@function
_ZN9rocsparseL12ell2csr_fillILj256EfllEEvT2_S1_S1_PKS1_PKT0_21rocsparse_index_base_PKT1_PS1_PS4_S7_: ; @_ZN9rocsparseL12ell2csr_fillILj256EfllEEvT2_S1_S1_PKS1_PKT0_21rocsparse_index_base_PKT1_PS1_PS4_S7_
; %bb.0:
	s_load_b128 s[4:7], s[0:1], 0x0
	v_lshl_or_b32 v0, s15, 8, v0
	v_mov_b32_e32 v1, 0
	s_mov_b32 s2, exec_lo
	s_waitcnt lgkmcnt(0)
	s_delay_alu instid0(VALU_DEP_1)
	v_cmpx_gt_i64_e64 s[4:5], v[0:1]
	s_cbranch_execz .LBB12_6
; %bb.1:
	s_load_b64 s[12:13], s[0:1], 0x10
	s_waitcnt lgkmcnt(0)
	v_cmp_lt_i64_e64 s2, s[12:13], 1
	s_delay_alu instid0(VALU_DEP_1)
	s_and_b32 vcc_lo, exec_lo, s2
	s_cbranch_vccnz .LBB12_6
; %bb.2:
	s_load_b128 s[8:11], s[0:1], 0x30
	v_lshlrev_b64 v[2:3], 3, v[0:1]
	v_lshlrev_b64 v[6:7], 2, v[0:1]
	s_mov_b32 s15, 0
	s_waitcnt lgkmcnt(0)
	s_delay_alu instid0(VALU_DEP_2) | instskip(NEXT) | instid1(VALU_DEP_3)
	v_add_co_u32 v4, vcc_lo, s8, v2
	v_add_co_ci_u32_e32 v5, vcc_lo, s9, v3, vcc_lo
	s_add_u32 s8, s12, -1
	s_addc_u32 s9, s13, -1
	s_lshl_b64 s[12:13], s[4:5], 3
	global_load_b64 v[4:5], v[4:5], off
	s_clause 0x3
	s_load_b128 s[16:19], s[0:1], 0x18
	s_load_b32 s14, s[0:1], 0x48
	s_load_b64 s[2:3], s[0:1], 0x40
	s_load_b32 s1, s[0:1], 0x28
	s_lshl_b64 s[4:5], s[4:5], 2
	s_waitcnt lgkmcnt(0)
	v_add_co_u32 v0, vcc_lo, s16, v2
	v_add_co_ci_u32_e32 v1, vcc_lo, s17, v3, vcc_lo
	s_waitcnt vmcnt(0)
	v_sub_co_u32 v4, vcc_lo, v4, s14
	v_subrev_co_ci_u32_e32 v5, vcc_lo, 0, v5, vcc_lo
	v_add_co_u32 v2, vcc_lo, s18, v6
	v_add_co_ci_u32_e32 v3, vcc_lo, s19, v7, vcc_lo
	s_branch .LBB12_4
.LBB12_3:                               ;   in Loop: Header=BB12_4 Depth=1
	s_or_b32 exec_lo, exec_lo, s16
	s_cmp_eq_u64 s[8:9], 0
	v_add_co_u32 v0, vcc_lo, v0, s12
	s_cselect_b32 s16, -1, 0
	v_add_co_ci_u32_e32 v1, vcc_lo, s13, v1, vcc_lo
	s_or_b32 s0, s0, s16
	v_add_co_u32 v2, vcc_lo, v2, s4
	s_add_u32 s8, s8, -1
	s_addc_u32 s9, s9, -1
	v_add_co_ci_u32_e32 v3, vcc_lo, s5, v3, vcc_lo
	s_and_b32 s0, exec_lo, s0
	s_delay_alu instid0(SALU_CYCLE_1) | instskip(NEXT) | instid1(SALU_CYCLE_1)
	s_or_b32 s15, s0, s15
	s_and_not1_b32 exec_lo, exec_lo, s15
	s_cbranch_execz .LBB12_6
.LBB12_4:                               ; =>This Inner Loop Header: Depth=1
	global_load_b64 v[6:7], v[0:1], off
	s_waitcnt vmcnt(0)
	v_sub_co_u32 v6, vcc_lo, v6, s1
	v_subrev_co_ci_u32_e32 v7, vcc_lo, 0, v7, vcc_lo
	s_delay_alu instid0(VALU_DEP_1) | instskip(SKIP_1) | instid1(VALU_DEP_1)
	v_cmp_gt_i64_e32 vcc_lo, 0, v[6:7]
	v_cmp_le_i64_e64 s0, s[6:7], v[6:7]
	s_or_b32 s0, vcc_lo, s0
	s_delay_alu instid0(SALU_CYCLE_1) | instskip(NEXT) | instid1(SALU_CYCLE_1)
	s_xor_b32 s17, s0, -1
	s_and_saveexec_b32 s16, s17
	s_cbranch_execz .LBB12_3
; %bb.5:                                ;   in Loop: Header=BB12_4 Depth=1
	global_load_b32 v14, v[2:3], off
	v_lshlrev_b64 v[8:9], 3, v[4:5]
	v_add_co_u32 v10, vcc_lo, v4, 1
	v_add_co_ci_u32_e32 v11, vcc_lo, 0, v5, vcc_lo
	v_lshlrev_b64 v[4:5], 2, v[4:5]
	s_delay_alu instid0(VALU_DEP_4)
	v_add_co_u32 v8, vcc_lo, s10, v8
	v_add_co_ci_u32_e32 v9, vcc_lo, s11, v9, vcc_lo
	v_add_co_u32 v6, vcc_lo, v6, s14
	v_add_co_ci_u32_e32 v7, vcc_lo, 0, v7, vcc_lo
	;; [unrolled: 2-line block ×3, first 2 shown]
	v_dual_mov_b32 v4, v10 :: v_dual_mov_b32 v5, v11
	global_store_b64 v[8:9], v[6:7], off
	s_waitcnt vmcnt(0)
	global_store_b32 v[12:13], v14, off
	s_branch .LBB12_3
.LBB12_6:
	s_nop 0
	s_sendmsg sendmsg(MSG_DEALLOC_VGPRS)
	s_endpgm
	.section	.rodata,"a",@progbits
	.p2align	6, 0x0
	.amdhsa_kernel _ZN9rocsparseL12ell2csr_fillILj256EfllEEvT2_S1_S1_PKS1_PKT0_21rocsparse_index_base_PKT1_PS1_PS4_S7_
		.amdhsa_group_segment_fixed_size 0
		.amdhsa_private_segment_fixed_size 0
		.amdhsa_kernarg_size 76
		.amdhsa_user_sgpr_count 15
		.amdhsa_user_sgpr_dispatch_ptr 0
		.amdhsa_user_sgpr_queue_ptr 0
		.amdhsa_user_sgpr_kernarg_segment_ptr 1
		.amdhsa_user_sgpr_dispatch_id 0
		.amdhsa_user_sgpr_private_segment_size 0
		.amdhsa_wavefront_size32 1
		.amdhsa_uses_dynamic_stack 0
		.amdhsa_enable_private_segment 0
		.amdhsa_system_sgpr_workgroup_id_x 1
		.amdhsa_system_sgpr_workgroup_id_y 0
		.amdhsa_system_sgpr_workgroup_id_z 0
		.amdhsa_system_sgpr_workgroup_info 0
		.amdhsa_system_vgpr_workitem_id 0
		.amdhsa_next_free_vgpr 15
		.amdhsa_next_free_sgpr 20
		.amdhsa_reserve_vcc 1
		.amdhsa_float_round_mode_32 0
		.amdhsa_float_round_mode_16_64 0
		.amdhsa_float_denorm_mode_32 3
		.amdhsa_float_denorm_mode_16_64 3
		.amdhsa_dx10_clamp 1
		.amdhsa_ieee_mode 1
		.amdhsa_fp16_overflow 0
		.amdhsa_workgroup_processor_mode 1
		.amdhsa_memory_ordered 1
		.amdhsa_forward_progress 0
		.amdhsa_shared_vgpr_count 0
		.amdhsa_exception_fp_ieee_invalid_op 0
		.amdhsa_exception_fp_denorm_src 0
		.amdhsa_exception_fp_ieee_div_zero 0
		.amdhsa_exception_fp_ieee_overflow 0
		.amdhsa_exception_fp_ieee_underflow 0
		.amdhsa_exception_fp_ieee_inexact 0
		.amdhsa_exception_int_div_zero 0
	.end_amdhsa_kernel
	.section	.text._ZN9rocsparseL12ell2csr_fillILj256EfllEEvT2_S1_S1_PKS1_PKT0_21rocsparse_index_base_PKT1_PS1_PS4_S7_,"axG",@progbits,_ZN9rocsparseL12ell2csr_fillILj256EfllEEvT2_S1_S1_PKS1_PKT0_21rocsparse_index_base_PKT1_PS1_PS4_S7_,comdat
.Lfunc_end12:
	.size	_ZN9rocsparseL12ell2csr_fillILj256EfllEEvT2_S1_S1_PKS1_PKT0_21rocsparse_index_base_PKT1_PS1_PS4_S7_, .Lfunc_end12-_ZN9rocsparseL12ell2csr_fillILj256EfllEEvT2_S1_S1_PKS1_PKT0_21rocsparse_index_base_PKT1_PS1_PS4_S7_
                                        ; -- End function
	.section	.AMDGPU.csdata,"",@progbits
; Kernel info:
; codeLenInByte = 480
; NumSgprs: 22
; NumVgprs: 15
; ScratchSize: 0
; MemoryBound: 0
; FloatMode: 240
; IeeeMode: 1
; LDSByteSize: 0 bytes/workgroup (compile time only)
; SGPRBlocks: 2
; VGPRBlocks: 1
; NumSGPRsForWavesPerEU: 22
; NumVGPRsForWavesPerEU: 15
; Occupancy: 16
; WaveLimiterHint : 0
; COMPUTE_PGM_RSRC2:SCRATCH_EN: 0
; COMPUTE_PGM_RSRC2:USER_SGPR: 15
; COMPUTE_PGM_RSRC2:TRAP_HANDLER: 0
; COMPUTE_PGM_RSRC2:TGID_X_EN: 1
; COMPUTE_PGM_RSRC2:TGID_Y_EN: 0
; COMPUTE_PGM_RSRC2:TGID_Z_EN: 0
; COMPUTE_PGM_RSRC2:TIDIG_COMP_CNT: 0
	.section	.text._ZN9rocsparseL12ell2csr_fillILj256E21rocsparse_complex_numIfEllEEvT2_S3_S3_PKS3_PKT0_21rocsparse_index_base_PKT1_PS3_PS6_S9_,"axG",@progbits,_ZN9rocsparseL12ell2csr_fillILj256E21rocsparse_complex_numIfEllEEvT2_S3_S3_PKS3_PKT0_21rocsparse_index_base_PKT1_PS3_PS6_S9_,comdat
	.globl	_ZN9rocsparseL12ell2csr_fillILj256E21rocsparse_complex_numIfEllEEvT2_S3_S3_PKS3_PKT0_21rocsparse_index_base_PKT1_PS3_PS6_S9_ ; -- Begin function _ZN9rocsparseL12ell2csr_fillILj256E21rocsparse_complex_numIfEllEEvT2_S3_S3_PKS3_PKT0_21rocsparse_index_base_PKT1_PS3_PS6_S9_
	.p2align	8
	.type	_ZN9rocsparseL12ell2csr_fillILj256E21rocsparse_complex_numIfEllEEvT2_S3_S3_PKS3_PKT0_21rocsparse_index_base_PKT1_PS3_PS6_S9_,@function
_ZN9rocsparseL12ell2csr_fillILj256E21rocsparse_complex_numIfEllEEvT2_S3_S3_PKS3_PKT0_21rocsparse_index_base_PKT1_PS3_PS6_S9_: ; @_ZN9rocsparseL12ell2csr_fillILj256E21rocsparse_complex_numIfEllEEvT2_S3_S3_PKS3_PKT0_21rocsparse_index_base_PKT1_PS3_PS6_S9_
; %bb.0:
	s_load_b128 s[4:7], s[0:1], 0x0
	v_lshl_or_b32 v0, s15, 8, v0
	v_mov_b32_e32 v1, 0
	s_mov_b32 s2, exec_lo
	s_waitcnt lgkmcnt(0)
	s_delay_alu instid0(VALU_DEP_1)
	v_cmpx_gt_i64_e64 s[4:5], v[0:1]
	s_cbranch_execz .LBB13_6
; %bb.1:
	s_load_b64 s[16:17], s[0:1], 0x10
	s_waitcnt lgkmcnt(0)
	v_cmp_lt_i64_e64 s2, s[16:17], 1
	s_delay_alu instid0(VALU_DEP_1)
	s_and_b32 vcc_lo, exec_lo, s2
	s_cbranch_vccnz .LBB13_6
; %bb.2:
	s_load_b128 s[8:11], s[0:1], 0x30
	v_lshlrev_b64 v[0:1], 3, v[0:1]
	s_mov_b32 s19, 0
	s_waitcnt lgkmcnt(0)
	s_delay_alu instid0(VALU_DEP_1) | instskip(NEXT) | instid1(VALU_DEP_2)
	v_add_co_u32 v2, vcc_lo, s8, v0
	v_add_co_ci_u32_e32 v3, vcc_lo, s9, v1, vcc_lo
	s_add_u32 s8, s16, -1
	s_addc_u32 s9, s17, -1
	s_lshl_b64 s[4:5], s[4:5], 3
	global_load_b64 v[2:3], v[2:3], off
	s_clause 0x3
	s_load_b32 s18, s[0:1], 0x48
	s_load_b64 s[2:3], s[0:1], 0x40
	s_load_b128 s[12:15], s[0:1], 0x18
	s_load_b32 s1, s[0:1], 0x28
	s_waitcnt vmcnt(0) lgkmcnt(0)
	v_sub_co_u32 v2, vcc_lo, v2, s18
	v_subrev_co_ci_u32_e32 v3, vcc_lo, 0, v3, vcc_lo
	s_branch .LBB13_4
.LBB13_3:                               ;   in Loop: Header=BB13_4 Depth=1
	s_or_b32 exec_lo, exec_lo, s16
	s_cmp_eq_u64 s[8:9], 0
	v_add_co_u32 v0, vcc_lo, v0, s4
	s_cselect_b32 s16, -1, 0
	v_add_co_ci_u32_e32 v1, vcc_lo, s5, v1, vcc_lo
	s_or_b32 s0, s0, s16
	s_add_u32 s8, s8, -1
	s_addc_u32 s9, s9, -1
	s_and_b32 s0, exec_lo, s0
	s_delay_alu instid0(SALU_CYCLE_1) | instskip(NEXT) | instid1(SALU_CYCLE_1)
	s_or_b32 s19, s0, s19
	s_and_not1_b32 exec_lo, exec_lo, s19
	s_cbranch_execz .LBB13_6
.LBB13_4:                               ; =>This Inner Loop Header: Depth=1
	v_add_co_u32 v4, vcc_lo, s12, v0
	v_add_co_ci_u32_e32 v5, vcc_lo, s13, v1, vcc_lo
	global_load_b64 v[4:5], v[4:5], off
	s_waitcnt vmcnt(0)
	v_sub_co_u32 v4, vcc_lo, v4, s1
	v_subrev_co_ci_u32_e32 v5, vcc_lo, 0, v5, vcc_lo
	s_delay_alu instid0(VALU_DEP_1) | instskip(SKIP_1) | instid1(VALU_DEP_1)
	v_cmp_gt_i64_e32 vcc_lo, 0, v[4:5]
	v_cmp_le_i64_e64 s0, s[6:7], v[4:5]
	s_or_b32 s0, vcc_lo, s0
	s_delay_alu instid0(SALU_CYCLE_1) | instskip(NEXT) | instid1(SALU_CYCLE_1)
	s_xor_b32 s17, s0, -1
	s_and_saveexec_b32 s16, s17
	s_cbranch_execz .LBB13_3
; %bb.5:                                ;   in Loop: Header=BB13_4 Depth=1
	v_add_co_u32 v6, vcc_lo, s14, v0
	v_add_co_ci_u32_e32 v7, vcc_lo, s15, v1, vcc_lo
	v_lshlrev_b64 v[8:9], 3, v[2:3]
	v_add_co_u32 v2, vcc_lo, v2, 1
	global_load_b64 v[6:7], v[6:7], off
	v_add_co_ci_u32_e32 v3, vcc_lo, 0, v3, vcc_lo
	v_add_co_u32 v10, vcc_lo, s10, v8
	v_add_co_ci_u32_e32 v11, vcc_lo, s11, v9, vcc_lo
	v_add_co_u32 v4, vcc_lo, v4, s18
	;; [unrolled: 2-line block ×3, first 2 shown]
	v_add_co_ci_u32_e32 v9, vcc_lo, s3, v9, vcc_lo
	global_store_b64 v[10:11], v[4:5], off
	s_waitcnt vmcnt(0)
	global_store_b64 v[8:9], v[6:7], off
	s_branch .LBB13_3
.LBB13_6:
	s_nop 0
	s_sendmsg sendmsg(MSG_DEALLOC_VGPRS)
	s_endpgm
	.section	.rodata,"a",@progbits
	.p2align	6, 0x0
	.amdhsa_kernel _ZN9rocsparseL12ell2csr_fillILj256E21rocsparse_complex_numIfEllEEvT2_S3_S3_PKS3_PKT0_21rocsparse_index_base_PKT1_PS3_PS6_S9_
		.amdhsa_group_segment_fixed_size 0
		.amdhsa_private_segment_fixed_size 0
		.amdhsa_kernarg_size 76
		.amdhsa_user_sgpr_count 15
		.amdhsa_user_sgpr_dispatch_ptr 0
		.amdhsa_user_sgpr_queue_ptr 0
		.amdhsa_user_sgpr_kernarg_segment_ptr 1
		.amdhsa_user_sgpr_dispatch_id 0
		.amdhsa_user_sgpr_private_segment_size 0
		.amdhsa_wavefront_size32 1
		.amdhsa_uses_dynamic_stack 0
		.amdhsa_enable_private_segment 0
		.amdhsa_system_sgpr_workgroup_id_x 1
		.amdhsa_system_sgpr_workgroup_id_y 0
		.amdhsa_system_sgpr_workgroup_id_z 0
		.amdhsa_system_sgpr_workgroup_info 0
		.amdhsa_system_vgpr_workitem_id 0
		.amdhsa_next_free_vgpr 12
		.amdhsa_next_free_sgpr 20
		.amdhsa_reserve_vcc 1
		.amdhsa_float_round_mode_32 0
		.amdhsa_float_round_mode_16_64 0
		.amdhsa_float_denorm_mode_32 3
		.amdhsa_float_denorm_mode_16_64 3
		.amdhsa_dx10_clamp 1
		.amdhsa_ieee_mode 1
		.amdhsa_fp16_overflow 0
		.amdhsa_workgroup_processor_mode 1
		.amdhsa_memory_ordered 1
		.amdhsa_forward_progress 0
		.amdhsa_shared_vgpr_count 0
		.amdhsa_exception_fp_ieee_invalid_op 0
		.amdhsa_exception_fp_denorm_src 0
		.amdhsa_exception_fp_ieee_div_zero 0
		.amdhsa_exception_fp_ieee_overflow 0
		.amdhsa_exception_fp_ieee_underflow 0
		.amdhsa_exception_fp_ieee_inexact 0
		.amdhsa_exception_int_div_zero 0
	.end_amdhsa_kernel
	.section	.text._ZN9rocsparseL12ell2csr_fillILj256E21rocsparse_complex_numIfEllEEvT2_S3_S3_PKS3_PKT0_21rocsparse_index_base_PKT1_PS3_PS6_S9_,"axG",@progbits,_ZN9rocsparseL12ell2csr_fillILj256E21rocsparse_complex_numIfEllEEvT2_S3_S3_PKS3_PKT0_21rocsparse_index_base_PKT1_PS3_PS6_S9_,comdat
.Lfunc_end13:
	.size	_ZN9rocsparseL12ell2csr_fillILj256E21rocsparse_complex_numIfEllEEvT2_S3_S3_PKS3_PKT0_21rocsparse_index_base_PKT1_PS3_PS6_S9_, .Lfunc_end13-_ZN9rocsparseL12ell2csr_fillILj256E21rocsparse_complex_numIfEllEEvT2_S3_S3_PKS3_PKT0_21rocsparse_index_base_PKT1_PS3_PS6_S9_
                                        ; -- End function
	.section	.AMDGPU.csdata,"",@progbits
; Kernel info:
; codeLenInByte = 432
; NumSgprs: 22
; NumVgprs: 12
; ScratchSize: 0
; MemoryBound: 0
; FloatMode: 240
; IeeeMode: 1
; LDSByteSize: 0 bytes/workgroup (compile time only)
; SGPRBlocks: 2
; VGPRBlocks: 1
; NumSGPRsForWavesPerEU: 22
; NumVGPRsForWavesPerEU: 12
; Occupancy: 16
; WaveLimiterHint : 0
; COMPUTE_PGM_RSRC2:SCRATCH_EN: 0
; COMPUTE_PGM_RSRC2:USER_SGPR: 15
; COMPUTE_PGM_RSRC2:TRAP_HANDLER: 0
; COMPUTE_PGM_RSRC2:TGID_X_EN: 1
; COMPUTE_PGM_RSRC2:TGID_Y_EN: 0
; COMPUTE_PGM_RSRC2:TGID_Z_EN: 0
; COMPUTE_PGM_RSRC2:TIDIG_COMP_CNT: 0
	.section	.text._ZN9rocsparseL12ell2csr_fillILj256EdllEEvT2_S1_S1_PKS1_PKT0_21rocsparse_index_base_PKT1_PS1_PS4_S7_,"axG",@progbits,_ZN9rocsparseL12ell2csr_fillILj256EdllEEvT2_S1_S1_PKS1_PKT0_21rocsparse_index_base_PKT1_PS1_PS4_S7_,comdat
	.globl	_ZN9rocsparseL12ell2csr_fillILj256EdllEEvT2_S1_S1_PKS1_PKT0_21rocsparse_index_base_PKT1_PS1_PS4_S7_ ; -- Begin function _ZN9rocsparseL12ell2csr_fillILj256EdllEEvT2_S1_S1_PKS1_PKT0_21rocsparse_index_base_PKT1_PS1_PS4_S7_
	.p2align	8
	.type	_ZN9rocsparseL12ell2csr_fillILj256EdllEEvT2_S1_S1_PKS1_PKT0_21rocsparse_index_base_PKT1_PS1_PS4_S7_,@function
_ZN9rocsparseL12ell2csr_fillILj256EdllEEvT2_S1_S1_PKS1_PKT0_21rocsparse_index_base_PKT1_PS1_PS4_S7_: ; @_ZN9rocsparseL12ell2csr_fillILj256EdllEEvT2_S1_S1_PKS1_PKT0_21rocsparse_index_base_PKT1_PS1_PS4_S7_
; %bb.0:
	s_load_b128 s[4:7], s[0:1], 0x0
	v_lshl_or_b32 v0, s15, 8, v0
	v_mov_b32_e32 v1, 0
	s_mov_b32 s2, exec_lo
	s_waitcnt lgkmcnt(0)
	s_delay_alu instid0(VALU_DEP_1)
	v_cmpx_gt_i64_e64 s[4:5], v[0:1]
	s_cbranch_execz .LBB14_6
; %bb.1:
	s_load_b64 s[16:17], s[0:1], 0x10
	s_waitcnt lgkmcnt(0)
	v_cmp_lt_i64_e64 s2, s[16:17], 1
	s_delay_alu instid0(VALU_DEP_1)
	s_and_b32 vcc_lo, exec_lo, s2
	s_cbranch_vccnz .LBB14_6
; %bb.2:
	s_load_b128 s[8:11], s[0:1], 0x30
	v_lshlrev_b64 v[0:1], 3, v[0:1]
	s_mov_b32 s19, 0
	s_waitcnt lgkmcnt(0)
	s_delay_alu instid0(VALU_DEP_1) | instskip(NEXT) | instid1(VALU_DEP_2)
	v_add_co_u32 v2, vcc_lo, s8, v0
	v_add_co_ci_u32_e32 v3, vcc_lo, s9, v1, vcc_lo
	s_add_u32 s8, s16, -1
	s_addc_u32 s9, s17, -1
	s_lshl_b64 s[4:5], s[4:5], 3
	global_load_b64 v[2:3], v[2:3], off
	s_clause 0x3
	s_load_b32 s18, s[0:1], 0x48
	s_load_b64 s[2:3], s[0:1], 0x40
	s_load_b128 s[12:15], s[0:1], 0x18
	s_load_b32 s1, s[0:1], 0x28
	s_waitcnt vmcnt(0) lgkmcnt(0)
	v_sub_co_u32 v2, vcc_lo, v2, s18
	v_subrev_co_ci_u32_e32 v3, vcc_lo, 0, v3, vcc_lo
	s_branch .LBB14_4
.LBB14_3:                               ;   in Loop: Header=BB14_4 Depth=1
	s_or_b32 exec_lo, exec_lo, s16
	s_cmp_eq_u64 s[8:9], 0
	v_add_co_u32 v0, vcc_lo, v0, s4
	s_cselect_b32 s16, -1, 0
	v_add_co_ci_u32_e32 v1, vcc_lo, s5, v1, vcc_lo
	s_or_b32 s0, s0, s16
	s_add_u32 s8, s8, -1
	s_addc_u32 s9, s9, -1
	s_and_b32 s0, exec_lo, s0
	s_delay_alu instid0(SALU_CYCLE_1) | instskip(NEXT) | instid1(SALU_CYCLE_1)
	s_or_b32 s19, s0, s19
	s_and_not1_b32 exec_lo, exec_lo, s19
	s_cbranch_execz .LBB14_6
.LBB14_4:                               ; =>This Inner Loop Header: Depth=1
	v_add_co_u32 v4, vcc_lo, s12, v0
	v_add_co_ci_u32_e32 v5, vcc_lo, s13, v1, vcc_lo
	global_load_b64 v[4:5], v[4:5], off
	s_waitcnt vmcnt(0)
	v_sub_co_u32 v4, vcc_lo, v4, s1
	v_subrev_co_ci_u32_e32 v5, vcc_lo, 0, v5, vcc_lo
	s_delay_alu instid0(VALU_DEP_1) | instskip(SKIP_1) | instid1(VALU_DEP_1)
	v_cmp_gt_i64_e32 vcc_lo, 0, v[4:5]
	v_cmp_le_i64_e64 s0, s[6:7], v[4:5]
	s_or_b32 s0, vcc_lo, s0
	s_delay_alu instid0(SALU_CYCLE_1) | instskip(NEXT) | instid1(SALU_CYCLE_1)
	s_xor_b32 s17, s0, -1
	s_and_saveexec_b32 s16, s17
	s_cbranch_execz .LBB14_3
; %bb.5:                                ;   in Loop: Header=BB14_4 Depth=1
	v_add_co_u32 v6, vcc_lo, s14, v0
	v_add_co_ci_u32_e32 v7, vcc_lo, s15, v1, vcc_lo
	v_lshlrev_b64 v[8:9], 3, v[2:3]
	v_add_co_u32 v2, vcc_lo, v2, 1
	global_load_b64 v[6:7], v[6:7], off
	v_add_co_ci_u32_e32 v3, vcc_lo, 0, v3, vcc_lo
	v_add_co_u32 v10, vcc_lo, s10, v8
	v_add_co_ci_u32_e32 v11, vcc_lo, s11, v9, vcc_lo
	v_add_co_u32 v4, vcc_lo, v4, s18
	v_add_co_ci_u32_e32 v5, vcc_lo, 0, v5, vcc_lo
	v_add_co_u32 v8, vcc_lo, s2, v8
	v_add_co_ci_u32_e32 v9, vcc_lo, s3, v9, vcc_lo
	global_store_b64 v[10:11], v[4:5], off
	s_waitcnt vmcnt(0)
	global_store_b64 v[8:9], v[6:7], off
	s_branch .LBB14_3
.LBB14_6:
	s_nop 0
	s_sendmsg sendmsg(MSG_DEALLOC_VGPRS)
	s_endpgm
	.section	.rodata,"a",@progbits
	.p2align	6, 0x0
	.amdhsa_kernel _ZN9rocsparseL12ell2csr_fillILj256EdllEEvT2_S1_S1_PKS1_PKT0_21rocsparse_index_base_PKT1_PS1_PS4_S7_
		.amdhsa_group_segment_fixed_size 0
		.amdhsa_private_segment_fixed_size 0
		.amdhsa_kernarg_size 76
		.amdhsa_user_sgpr_count 15
		.amdhsa_user_sgpr_dispatch_ptr 0
		.amdhsa_user_sgpr_queue_ptr 0
		.amdhsa_user_sgpr_kernarg_segment_ptr 1
		.amdhsa_user_sgpr_dispatch_id 0
		.amdhsa_user_sgpr_private_segment_size 0
		.amdhsa_wavefront_size32 1
		.amdhsa_uses_dynamic_stack 0
		.amdhsa_enable_private_segment 0
		.amdhsa_system_sgpr_workgroup_id_x 1
		.amdhsa_system_sgpr_workgroup_id_y 0
		.amdhsa_system_sgpr_workgroup_id_z 0
		.amdhsa_system_sgpr_workgroup_info 0
		.amdhsa_system_vgpr_workitem_id 0
		.amdhsa_next_free_vgpr 12
		.amdhsa_next_free_sgpr 20
		.amdhsa_reserve_vcc 1
		.amdhsa_float_round_mode_32 0
		.amdhsa_float_round_mode_16_64 0
		.amdhsa_float_denorm_mode_32 3
		.amdhsa_float_denorm_mode_16_64 3
		.amdhsa_dx10_clamp 1
		.amdhsa_ieee_mode 1
		.amdhsa_fp16_overflow 0
		.amdhsa_workgroup_processor_mode 1
		.amdhsa_memory_ordered 1
		.amdhsa_forward_progress 0
		.amdhsa_shared_vgpr_count 0
		.amdhsa_exception_fp_ieee_invalid_op 0
		.amdhsa_exception_fp_denorm_src 0
		.amdhsa_exception_fp_ieee_div_zero 0
		.amdhsa_exception_fp_ieee_overflow 0
		.amdhsa_exception_fp_ieee_underflow 0
		.amdhsa_exception_fp_ieee_inexact 0
		.amdhsa_exception_int_div_zero 0
	.end_amdhsa_kernel
	.section	.text._ZN9rocsparseL12ell2csr_fillILj256EdllEEvT2_S1_S1_PKS1_PKT0_21rocsparse_index_base_PKT1_PS1_PS4_S7_,"axG",@progbits,_ZN9rocsparseL12ell2csr_fillILj256EdllEEvT2_S1_S1_PKS1_PKT0_21rocsparse_index_base_PKT1_PS1_PS4_S7_,comdat
.Lfunc_end14:
	.size	_ZN9rocsparseL12ell2csr_fillILj256EdllEEvT2_S1_S1_PKS1_PKT0_21rocsparse_index_base_PKT1_PS1_PS4_S7_, .Lfunc_end14-_ZN9rocsparseL12ell2csr_fillILj256EdllEEvT2_S1_S1_PKS1_PKT0_21rocsparse_index_base_PKT1_PS1_PS4_S7_
                                        ; -- End function
	.section	.AMDGPU.csdata,"",@progbits
; Kernel info:
; codeLenInByte = 432
; NumSgprs: 22
; NumVgprs: 12
; ScratchSize: 0
; MemoryBound: 0
; FloatMode: 240
; IeeeMode: 1
; LDSByteSize: 0 bytes/workgroup (compile time only)
; SGPRBlocks: 2
; VGPRBlocks: 1
; NumSGPRsForWavesPerEU: 22
; NumVGPRsForWavesPerEU: 12
; Occupancy: 16
; WaveLimiterHint : 0
; COMPUTE_PGM_RSRC2:SCRATCH_EN: 0
; COMPUTE_PGM_RSRC2:USER_SGPR: 15
; COMPUTE_PGM_RSRC2:TRAP_HANDLER: 0
; COMPUTE_PGM_RSRC2:TGID_X_EN: 1
; COMPUTE_PGM_RSRC2:TGID_Y_EN: 0
; COMPUTE_PGM_RSRC2:TGID_Z_EN: 0
; COMPUTE_PGM_RSRC2:TIDIG_COMP_CNT: 0
	.section	.text._ZN9rocsparseL12ell2csr_fillILj256E21rocsparse_complex_numIdEllEEvT2_S3_S3_PKS3_PKT0_21rocsparse_index_base_PKT1_PS3_PS6_S9_,"axG",@progbits,_ZN9rocsparseL12ell2csr_fillILj256E21rocsparse_complex_numIdEllEEvT2_S3_S3_PKS3_PKT0_21rocsparse_index_base_PKT1_PS3_PS6_S9_,comdat
	.globl	_ZN9rocsparseL12ell2csr_fillILj256E21rocsparse_complex_numIdEllEEvT2_S3_S3_PKS3_PKT0_21rocsparse_index_base_PKT1_PS3_PS6_S9_ ; -- Begin function _ZN9rocsparseL12ell2csr_fillILj256E21rocsparse_complex_numIdEllEEvT2_S3_S3_PKS3_PKT0_21rocsparse_index_base_PKT1_PS3_PS6_S9_
	.p2align	8
	.type	_ZN9rocsparseL12ell2csr_fillILj256E21rocsparse_complex_numIdEllEEvT2_S3_S3_PKS3_PKT0_21rocsparse_index_base_PKT1_PS3_PS6_S9_,@function
_ZN9rocsparseL12ell2csr_fillILj256E21rocsparse_complex_numIdEllEEvT2_S3_S3_PKS3_PKT0_21rocsparse_index_base_PKT1_PS3_PS6_S9_: ; @_ZN9rocsparseL12ell2csr_fillILj256E21rocsparse_complex_numIdEllEEvT2_S3_S3_PKS3_PKT0_21rocsparse_index_base_PKT1_PS3_PS6_S9_
; %bb.0:
	s_load_b128 s[4:7], s[0:1], 0x0
	v_lshl_or_b32 v0, s15, 8, v0
	v_mov_b32_e32 v1, 0
	s_mov_b32 s2, exec_lo
	s_waitcnt lgkmcnt(0)
	s_delay_alu instid0(VALU_DEP_1)
	v_cmpx_gt_i64_e64 s[4:5], v[0:1]
	s_cbranch_execz .LBB15_6
; %bb.1:
	s_load_b64 s[12:13], s[0:1], 0x10
	s_waitcnt lgkmcnt(0)
	v_cmp_lt_i64_e64 s2, s[12:13], 1
	s_delay_alu instid0(VALU_DEP_1)
	s_and_b32 vcc_lo, exec_lo, s2
	s_cbranch_vccnz .LBB15_6
; %bb.2:
	s_load_b128 s[8:11], s[0:1], 0x30
	v_lshlrev_b64 v[2:3], 3, v[0:1]
	v_lshlrev_b64 v[6:7], 4, v[0:1]
	s_mov_b32 s15, 0
	s_waitcnt lgkmcnt(0)
	s_delay_alu instid0(VALU_DEP_2) | instskip(NEXT) | instid1(VALU_DEP_3)
	v_add_co_u32 v4, vcc_lo, s8, v2
	v_add_co_ci_u32_e32 v5, vcc_lo, s9, v3, vcc_lo
	s_add_u32 s8, s12, -1
	s_addc_u32 s9, s13, -1
	s_lshl_b64 s[12:13], s[4:5], 3
	global_load_b64 v[4:5], v[4:5], off
	s_clause 0x3
	s_load_b128 s[16:19], s[0:1], 0x18
	s_load_b32 s14, s[0:1], 0x48
	s_load_b64 s[2:3], s[0:1], 0x40
	s_load_b32 s1, s[0:1], 0x28
	s_lshl_b64 s[4:5], s[4:5], 4
	s_waitcnt lgkmcnt(0)
	v_add_co_u32 v0, vcc_lo, s16, v2
	v_add_co_ci_u32_e32 v1, vcc_lo, s17, v3, vcc_lo
	s_waitcnt vmcnt(0)
	v_sub_co_u32 v4, vcc_lo, v4, s14
	v_subrev_co_ci_u32_e32 v5, vcc_lo, 0, v5, vcc_lo
	v_add_co_u32 v2, vcc_lo, s18, v6
	v_add_co_ci_u32_e32 v3, vcc_lo, s19, v7, vcc_lo
	s_branch .LBB15_4
.LBB15_3:                               ;   in Loop: Header=BB15_4 Depth=1
	s_or_b32 exec_lo, exec_lo, s16
	s_cmp_eq_u64 s[8:9], 0
	v_add_co_u32 v0, vcc_lo, v0, s12
	s_cselect_b32 s16, -1, 0
	v_add_co_ci_u32_e32 v1, vcc_lo, s13, v1, vcc_lo
	s_or_b32 s0, s0, s16
	v_add_co_u32 v2, vcc_lo, v2, s4
	s_add_u32 s8, s8, -1
	s_addc_u32 s9, s9, -1
	v_add_co_ci_u32_e32 v3, vcc_lo, s5, v3, vcc_lo
	s_and_b32 s0, exec_lo, s0
	s_delay_alu instid0(SALU_CYCLE_1) | instskip(NEXT) | instid1(SALU_CYCLE_1)
	s_or_b32 s15, s0, s15
	s_and_not1_b32 exec_lo, exec_lo, s15
	s_cbranch_execz .LBB15_6
.LBB15_4:                               ; =>This Inner Loop Header: Depth=1
	global_load_b64 v[6:7], v[0:1], off
	s_waitcnt vmcnt(0)
	v_sub_co_u32 v6, vcc_lo, v6, s1
	v_subrev_co_ci_u32_e32 v7, vcc_lo, 0, v7, vcc_lo
	s_delay_alu instid0(VALU_DEP_1) | instskip(SKIP_1) | instid1(VALU_DEP_1)
	v_cmp_gt_i64_e32 vcc_lo, 0, v[6:7]
	v_cmp_le_i64_e64 s0, s[6:7], v[6:7]
	s_or_b32 s0, vcc_lo, s0
	s_delay_alu instid0(SALU_CYCLE_1) | instskip(NEXT) | instid1(SALU_CYCLE_1)
	s_xor_b32 s17, s0, -1
	s_and_saveexec_b32 s16, s17
	s_cbranch_execz .LBB15_3
; %bb.5:                                ;   in Loop: Header=BB15_4 Depth=1
	global_load_b128 v[8:11], v[2:3], off
	v_lshlrev_b64 v[12:13], 3, v[4:5]
	v_add_co_u32 v14, vcc_lo, v4, 1
	v_add_co_ci_u32_e32 v15, vcc_lo, 0, v5, vcc_lo
	v_lshlrev_b64 v[4:5], 4, v[4:5]
	s_delay_alu instid0(VALU_DEP_4)
	v_add_co_u32 v12, vcc_lo, s10, v12
	v_add_co_ci_u32_e32 v13, vcc_lo, s11, v13, vcc_lo
	v_add_co_u32 v6, vcc_lo, v6, s14
	v_add_co_ci_u32_e32 v7, vcc_lo, 0, v7, vcc_lo
	;; [unrolled: 2-line block ×3, first 2 shown]
	v_dual_mov_b32 v4, v14 :: v_dual_mov_b32 v5, v15
	global_store_b64 v[12:13], v[6:7], off
	s_waitcnt vmcnt(0)
	global_store_b128 v[16:17], v[8:11], off
	s_branch .LBB15_3
.LBB15_6:
	s_nop 0
	s_sendmsg sendmsg(MSG_DEALLOC_VGPRS)
	s_endpgm
	.section	.rodata,"a",@progbits
	.p2align	6, 0x0
	.amdhsa_kernel _ZN9rocsparseL12ell2csr_fillILj256E21rocsparse_complex_numIdEllEEvT2_S3_S3_PKS3_PKT0_21rocsparse_index_base_PKT1_PS3_PS6_S9_
		.amdhsa_group_segment_fixed_size 0
		.amdhsa_private_segment_fixed_size 0
		.amdhsa_kernarg_size 76
		.amdhsa_user_sgpr_count 15
		.amdhsa_user_sgpr_dispatch_ptr 0
		.amdhsa_user_sgpr_queue_ptr 0
		.amdhsa_user_sgpr_kernarg_segment_ptr 1
		.amdhsa_user_sgpr_dispatch_id 0
		.amdhsa_user_sgpr_private_segment_size 0
		.amdhsa_wavefront_size32 1
		.amdhsa_uses_dynamic_stack 0
		.amdhsa_enable_private_segment 0
		.amdhsa_system_sgpr_workgroup_id_x 1
		.amdhsa_system_sgpr_workgroup_id_y 0
		.amdhsa_system_sgpr_workgroup_id_z 0
		.amdhsa_system_sgpr_workgroup_info 0
		.amdhsa_system_vgpr_workitem_id 0
		.amdhsa_next_free_vgpr 18
		.amdhsa_next_free_sgpr 20
		.amdhsa_reserve_vcc 1
		.amdhsa_float_round_mode_32 0
		.amdhsa_float_round_mode_16_64 0
		.amdhsa_float_denorm_mode_32 3
		.amdhsa_float_denorm_mode_16_64 3
		.amdhsa_dx10_clamp 1
		.amdhsa_ieee_mode 1
		.amdhsa_fp16_overflow 0
		.amdhsa_workgroup_processor_mode 1
		.amdhsa_memory_ordered 1
		.amdhsa_forward_progress 0
		.amdhsa_shared_vgpr_count 0
		.amdhsa_exception_fp_ieee_invalid_op 0
		.amdhsa_exception_fp_denorm_src 0
		.amdhsa_exception_fp_ieee_div_zero 0
		.amdhsa_exception_fp_ieee_overflow 0
		.amdhsa_exception_fp_ieee_underflow 0
		.amdhsa_exception_fp_ieee_inexact 0
		.amdhsa_exception_int_div_zero 0
	.end_amdhsa_kernel
	.section	.text._ZN9rocsparseL12ell2csr_fillILj256E21rocsparse_complex_numIdEllEEvT2_S3_S3_PKS3_PKT0_21rocsparse_index_base_PKT1_PS3_PS6_S9_,"axG",@progbits,_ZN9rocsparseL12ell2csr_fillILj256E21rocsparse_complex_numIdEllEEvT2_S3_S3_PKS3_PKT0_21rocsparse_index_base_PKT1_PS3_PS6_S9_,comdat
.Lfunc_end15:
	.size	_ZN9rocsparseL12ell2csr_fillILj256E21rocsparse_complex_numIdEllEEvT2_S3_S3_PKS3_PKT0_21rocsparse_index_base_PKT1_PS3_PS6_S9_, .Lfunc_end15-_ZN9rocsparseL12ell2csr_fillILj256E21rocsparse_complex_numIdEllEEvT2_S3_S3_PKS3_PKT0_21rocsparse_index_base_PKT1_PS3_PS6_S9_
                                        ; -- End function
	.section	.AMDGPU.csdata,"",@progbits
; Kernel info:
; codeLenInByte = 480
; NumSgprs: 22
; NumVgprs: 18
; ScratchSize: 0
; MemoryBound: 0
; FloatMode: 240
; IeeeMode: 1
; LDSByteSize: 0 bytes/workgroup (compile time only)
; SGPRBlocks: 2
; VGPRBlocks: 2
; NumSGPRsForWavesPerEU: 22
; NumVGPRsForWavesPerEU: 18
; Occupancy: 16
; WaveLimiterHint : 0
; COMPUTE_PGM_RSRC2:SCRATCH_EN: 0
; COMPUTE_PGM_RSRC2:USER_SGPR: 15
; COMPUTE_PGM_RSRC2:TRAP_HANDLER: 0
; COMPUTE_PGM_RSRC2:TGID_X_EN: 1
; COMPUTE_PGM_RSRC2:TGID_Y_EN: 0
; COMPUTE_PGM_RSRC2:TGID_Z_EN: 0
; COMPUTE_PGM_RSRC2:TIDIG_COMP_CNT: 0
	.section	.text._ZN9rocsparseL19ell2csr_nnz_per_rowILj256EiiEEvT1_S1_S1_PKS1_21rocsparse_index_base_PT0_S4_,"axG",@progbits,_ZN9rocsparseL19ell2csr_nnz_per_rowILj256EiiEEvT1_S1_S1_PKS1_21rocsparse_index_base_PT0_S4_,comdat
	.globl	_ZN9rocsparseL19ell2csr_nnz_per_rowILj256EiiEEvT1_S1_S1_PKS1_21rocsparse_index_base_PT0_S4_ ; -- Begin function _ZN9rocsparseL19ell2csr_nnz_per_rowILj256EiiEEvT1_S1_S1_PKS1_21rocsparse_index_base_PT0_S4_
	.p2align	8
	.type	_ZN9rocsparseL19ell2csr_nnz_per_rowILj256EiiEEvT1_S1_S1_PKS1_21rocsparse_index_base_PT0_S4_,@function
_ZN9rocsparseL19ell2csr_nnz_per_rowILj256EiiEEvT1_S1_S1_PKS1_21rocsparse_index_base_PT0_S4_: ; @_ZN9rocsparseL19ell2csr_nnz_per_rowILj256EiiEEvT1_S1_S1_PKS1_21rocsparse_index_base_PT0_S4_
; %bb.0:
	s_load_b128 s[4:7], s[0:1], 0x0
	v_lshl_or_b32 v0, s15, 8, v0
	s_mov_b32 s2, exec_lo
	s_waitcnt lgkmcnt(0)
	s_delay_alu instid0(VALU_DEP_1)
	v_cmpx_gt_i32_e64 s4, v0
	s_cbranch_execz .LBB16_11
; %bb.1:
	s_load_b64 s[2:3], s[0:1], 0x20
	s_mov_b32 s7, exec_lo
	v_cmpx_eq_u32_e32 0, v0
	s_cbranch_execz .LBB16_3
; %bb.2:
	s_load_b32 s8, s[0:1], 0x28
	s_waitcnt lgkmcnt(0)
	v_dual_mov_b32 v1, 0 :: v_dual_mov_b32 v2, s8
	global_store_b32 v1, v2, s[2:3]
.LBB16_3:
	s_or_b32 exec_lo, exec_lo, s7
	s_cmp_lt_i32 s6, 1
	s_cbranch_scc1 .LBB16_9
; %bb.4:
	s_clause 0x1
	s_load_b64 s[8:9], s[0:1], 0x10
	s_load_b32 s1, s[0:1], 0x18
	v_mov_b32_e32 v1, v0
	s_mov_b32 s7, 0
	s_mov_b32 s10, 0
                                        ; implicit-def: $sgpr11
	s_set_inst_prefetch_distance 0x1
	s_branch .LBB16_6
	.p2align	6
.LBB16_5:                               ;   in Loop: Header=BB16_6 Depth=1
	s_or_b32 exec_lo, exec_lo, s0
	s_delay_alu instid0(SALU_CYCLE_1) | instskip(NEXT) | instid1(SALU_CYCLE_1)
	s_and_b32 s0, exec_lo, s11
	s_or_b32 s7, s0, s7
	s_delay_alu instid0(SALU_CYCLE_1)
	s_and_not1_b32 exec_lo, exec_lo, s7
	s_cbranch_execz .LBB16_8
.LBB16_6:                               ; =>This Inner Loop Header: Depth=1
	v_ashrrev_i32_e32 v2, 31, v1
	s_or_b32 s11, s11, exec_lo
	s_delay_alu instid0(VALU_DEP_1) | instskip(SKIP_1) | instid1(VALU_DEP_1)
	v_lshlrev_b64 v[2:3], 2, v[1:2]
	s_waitcnt lgkmcnt(0)
	v_add_co_u32 v2, vcc_lo, s8, v2
	s_delay_alu instid0(VALU_DEP_2) | instskip(SKIP_3) | instid1(VALU_DEP_1)
	v_add_co_ci_u32_e32 v3, vcc_lo, s9, v3, vcc_lo
	global_load_b32 v2, v[2:3], off
	s_waitcnt vmcnt(0)
	v_subrev_nc_u32_e32 v2, s1, v2
	v_cmp_lt_i32_e32 vcc_lo, -1, v2
	v_cmp_gt_i32_e64 s0, s5, v2
	v_mov_b32_e32 v2, s10
	s_delay_alu instid0(VALU_DEP_2) | instskip(NEXT) | instid1(SALU_CYCLE_1)
	s_and_b32 s12, vcc_lo, s0
	s_and_saveexec_b32 s0, s12
	s_cbranch_execz .LBB16_5
; %bb.7:                                ;   in Loop: Header=BB16_6 Depth=1
	s_add_i32 s10, s10, 1
	v_dual_mov_b32 v2, s6 :: v_dual_add_nc_u32 v1, s4, v1
	s_cmp_eq_u32 s6, s10
	s_cselect_b32 s12, -1, 0
	s_and_not1_b32 s11, s11, exec_lo
	s_and_b32 s12, s12, exec_lo
	s_delay_alu instid0(SALU_CYCLE_1)
	s_or_b32 s11, s11, s12
	s_branch .LBB16_5
.LBB16_8:
	s_set_inst_prefetch_distance 0x2
	s_or_b32 exec_lo, exec_lo, s7
	s_branch .LBB16_10
.LBB16_9:
	v_mov_b32_e32 v2, 0
.LBB16_10:
	v_ashrrev_i32_e32 v1, 31, v0
	s_delay_alu instid0(VALU_DEP_1) | instskip(SKIP_1) | instid1(VALU_DEP_1)
	v_lshlrev_b64 v[0:1], 2, v[0:1]
	s_waitcnt lgkmcnt(0)
	v_add_co_u32 v0, vcc_lo, s2, v0
	s_delay_alu instid0(VALU_DEP_2)
	v_add_co_ci_u32_e32 v1, vcc_lo, s3, v1, vcc_lo
	global_store_b32 v[0:1], v2, off offset:4
.LBB16_11:
	s_nop 0
	s_sendmsg sendmsg(MSG_DEALLOC_VGPRS)
	s_endpgm
	.section	.rodata,"a",@progbits
	.p2align	6, 0x0
	.amdhsa_kernel _ZN9rocsparseL19ell2csr_nnz_per_rowILj256EiiEEvT1_S1_S1_PKS1_21rocsparse_index_base_PT0_S4_
		.amdhsa_group_segment_fixed_size 0
		.amdhsa_private_segment_fixed_size 0
		.amdhsa_kernarg_size 44
		.amdhsa_user_sgpr_count 15
		.amdhsa_user_sgpr_dispatch_ptr 0
		.amdhsa_user_sgpr_queue_ptr 0
		.amdhsa_user_sgpr_kernarg_segment_ptr 1
		.amdhsa_user_sgpr_dispatch_id 0
		.amdhsa_user_sgpr_private_segment_size 0
		.amdhsa_wavefront_size32 1
		.amdhsa_uses_dynamic_stack 0
		.amdhsa_enable_private_segment 0
		.amdhsa_system_sgpr_workgroup_id_x 1
		.amdhsa_system_sgpr_workgroup_id_y 0
		.amdhsa_system_sgpr_workgroup_id_z 0
		.amdhsa_system_sgpr_workgroup_info 0
		.amdhsa_system_vgpr_workitem_id 0
		.amdhsa_next_free_vgpr 4
		.amdhsa_next_free_sgpr 16
		.amdhsa_reserve_vcc 1
		.amdhsa_float_round_mode_32 0
		.amdhsa_float_round_mode_16_64 0
		.amdhsa_float_denorm_mode_32 3
		.amdhsa_float_denorm_mode_16_64 3
		.amdhsa_dx10_clamp 1
		.amdhsa_ieee_mode 1
		.amdhsa_fp16_overflow 0
		.amdhsa_workgroup_processor_mode 1
		.amdhsa_memory_ordered 1
		.amdhsa_forward_progress 0
		.amdhsa_shared_vgpr_count 0
		.amdhsa_exception_fp_ieee_invalid_op 0
		.amdhsa_exception_fp_denorm_src 0
		.amdhsa_exception_fp_ieee_div_zero 0
		.amdhsa_exception_fp_ieee_overflow 0
		.amdhsa_exception_fp_ieee_underflow 0
		.amdhsa_exception_fp_ieee_inexact 0
		.amdhsa_exception_int_div_zero 0
	.end_amdhsa_kernel
	.section	.text._ZN9rocsparseL19ell2csr_nnz_per_rowILj256EiiEEvT1_S1_S1_PKS1_21rocsparse_index_base_PT0_S4_,"axG",@progbits,_ZN9rocsparseL19ell2csr_nnz_per_rowILj256EiiEEvT1_S1_S1_PKS1_21rocsparse_index_base_PT0_S4_,comdat
.Lfunc_end16:
	.size	_ZN9rocsparseL19ell2csr_nnz_per_rowILj256EiiEEvT1_S1_S1_PKS1_21rocsparse_index_base_PT0_S4_, .Lfunc_end16-_ZN9rocsparseL19ell2csr_nnz_per_rowILj256EiiEEvT1_S1_S1_PKS1_21rocsparse_index_base_PT0_S4_
                                        ; -- End function
	.section	.AMDGPU.csdata,"",@progbits
; Kernel info:
; codeLenInByte = 368
; NumSgprs: 18
; NumVgprs: 4
; ScratchSize: 0
; MemoryBound: 0
; FloatMode: 240
; IeeeMode: 1
; LDSByteSize: 0 bytes/workgroup (compile time only)
; SGPRBlocks: 2
; VGPRBlocks: 0
; NumSGPRsForWavesPerEU: 18
; NumVGPRsForWavesPerEU: 4
; Occupancy: 16
; WaveLimiterHint : 0
; COMPUTE_PGM_RSRC2:SCRATCH_EN: 0
; COMPUTE_PGM_RSRC2:USER_SGPR: 15
; COMPUTE_PGM_RSRC2:TRAP_HANDLER: 0
; COMPUTE_PGM_RSRC2:TGID_X_EN: 1
; COMPUTE_PGM_RSRC2:TGID_Y_EN: 0
; COMPUTE_PGM_RSRC2:TGID_Z_EN: 0
; COMPUTE_PGM_RSRC2:TIDIG_COMP_CNT: 0
	.section	.text._ZN9rocsparseL18ell2csr_index_baseILj1EiEEvPT0_,"axG",@progbits,_ZN9rocsparseL18ell2csr_index_baseILj1EiEEvPT0_,comdat
	.globl	_ZN9rocsparseL18ell2csr_index_baseILj1EiEEvPT0_ ; -- Begin function _ZN9rocsparseL18ell2csr_index_baseILj1EiEEvPT0_
	.p2align	8
	.type	_ZN9rocsparseL18ell2csr_index_baseILj1EiEEvPT0_,@function
_ZN9rocsparseL18ell2csr_index_baseILj1EiEEvPT0_: ; @_ZN9rocsparseL18ell2csr_index_baseILj1EiEEvPT0_
; %bb.0:
	s_load_b64 s[0:1], s[0:1], 0x0
	s_waitcnt lgkmcnt(0)
	s_load_b32 s2, s[0:1], 0x0
	s_waitcnt lgkmcnt(0)
	s_add_i32 s2, s2, -1
	s_delay_alu instid0(SALU_CYCLE_1)
	v_dual_mov_b32 v0, 0 :: v_dual_mov_b32 v1, s2
	global_store_b32 v0, v1, s[0:1]
	s_nop 0
	s_sendmsg sendmsg(MSG_DEALLOC_VGPRS)
	s_endpgm
	.section	.rodata,"a",@progbits
	.p2align	6, 0x0
	.amdhsa_kernel _ZN9rocsparseL18ell2csr_index_baseILj1EiEEvPT0_
		.amdhsa_group_segment_fixed_size 0
		.amdhsa_private_segment_fixed_size 0
		.amdhsa_kernarg_size 8
		.amdhsa_user_sgpr_count 15
		.amdhsa_user_sgpr_dispatch_ptr 0
		.amdhsa_user_sgpr_queue_ptr 0
		.amdhsa_user_sgpr_kernarg_segment_ptr 1
		.amdhsa_user_sgpr_dispatch_id 0
		.amdhsa_user_sgpr_private_segment_size 0
		.amdhsa_wavefront_size32 1
		.amdhsa_uses_dynamic_stack 0
		.amdhsa_enable_private_segment 0
		.amdhsa_system_sgpr_workgroup_id_x 1
		.amdhsa_system_sgpr_workgroup_id_y 0
		.amdhsa_system_sgpr_workgroup_id_z 0
		.amdhsa_system_sgpr_workgroup_info 0
		.amdhsa_system_vgpr_workitem_id 0
		.amdhsa_next_free_vgpr 2
		.amdhsa_next_free_sgpr 3
		.amdhsa_reserve_vcc 0
		.amdhsa_float_round_mode_32 0
		.amdhsa_float_round_mode_16_64 0
		.amdhsa_float_denorm_mode_32 3
		.amdhsa_float_denorm_mode_16_64 3
		.amdhsa_dx10_clamp 1
		.amdhsa_ieee_mode 1
		.amdhsa_fp16_overflow 0
		.amdhsa_workgroup_processor_mode 1
		.amdhsa_memory_ordered 1
		.amdhsa_forward_progress 0
		.amdhsa_shared_vgpr_count 0
		.amdhsa_exception_fp_ieee_invalid_op 0
		.amdhsa_exception_fp_denorm_src 0
		.amdhsa_exception_fp_ieee_div_zero 0
		.amdhsa_exception_fp_ieee_overflow 0
		.amdhsa_exception_fp_ieee_underflow 0
		.amdhsa_exception_fp_ieee_inexact 0
		.amdhsa_exception_int_div_zero 0
	.end_amdhsa_kernel
	.section	.text._ZN9rocsparseL18ell2csr_index_baseILj1EiEEvPT0_,"axG",@progbits,_ZN9rocsparseL18ell2csr_index_baseILj1EiEEvPT0_,comdat
.Lfunc_end17:
	.size	_ZN9rocsparseL18ell2csr_index_baseILj1EiEEvPT0_, .Lfunc_end17-_ZN9rocsparseL18ell2csr_index_baseILj1EiEEvPT0_
                                        ; -- End function
	.section	.AMDGPU.csdata,"",@progbits
; Kernel info:
; codeLenInByte = 60
; NumSgprs: 3
; NumVgprs: 2
; ScratchSize: 0
; MemoryBound: 0
; FloatMode: 240
; IeeeMode: 1
; LDSByteSize: 0 bytes/workgroup (compile time only)
; SGPRBlocks: 0
; VGPRBlocks: 0
; NumSGPRsForWavesPerEU: 3
; NumVGPRsForWavesPerEU: 2
; Occupancy: 16
; WaveLimiterHint : 0
; COMPUTE_PGM_RSRC2:SCRATCH_EN: 0
; COMPUTE_PGM_RSRC2:USER_SGPR: 15
; COMPUTE_PGM_RSRC2:TRAP_HANDLER: 0
; COMPUTE_PGM_RSRC2:TGID_X_EN: 1
; COMPUTE_PGM_RSRC2:TGID_Y_EN: 0
; COMPUTE_PGM_RSRC2:TGID_Z_EN: 0
; COMPUTE_PGM_RSRC2:TIDIG_COMP_CNT: 0
	.section	.text._ZN9rocsparseL19ell2csr_nnz_per_rowILj256EliEEvT1_S1_S1_PKS1_21rocsparse_index_base_PT0_S4_,"axG",@progbits,_ZN9rocsparseL19ell2csr_nnz_per_rowILj256EliEEvT1_S1_S1_PKS1_21rocsparse_index_base_PT0_S4_,comdat
	.globl	_ZN9rocsparseL19ell2csr_nnz_per_rowILj256EliEEvT1_S1_S1_PKS1_21rocsparse_index_base_PT0_S4_ ; -- Begin function _ZN9rocsparseL19ell2csr_nnz_per_rowILj256EliEEvT1_S1_S1_PKS1_21rocsparse_index_base_PT0_S4_
	.p2align	8
	.type	_ZN9rocsparseL19ell2csr_nnz_per_rowILj256EliEEvT1_S1_S1_PKS1_21rocsparse_index_base_PT0_S4_,@function
_ZN9rocsparseL19ell2csr_nnz_per_rowILj256EliEEvT1_S1_S1_PKS1_21rocsparse_index_base_PT0_S4_: ; @_ZN9rocsparseL19ell2csr_nnz_per_rowILj256EliEEvT1_S1_S1_PKS1_21rocsparse_index_base_PT0_S4_
; %bb.0:
	s_load_b128 s[4:7], s[0:1], 0x0
	v_lshl_or_b32 v0, s15, 8, v0
	s_mov_b32 s2, exec_lo
	s_waitcnt lgkmcnt(0)
	s_delay_alu instid0(VALU_DEP_1)
	v_cmpx_gt_i32_e64 s4, v0
	s_cbranch_execz .LBB18_11
; %bb.1:
	s_load_b64 s[2:3], s[0:1], 0x20
	s_mov_b32 s7, exec_lo
	v_cmpx_eq_u32_e32 0, v0
	s_cbranch_execz .LBB18_3
; %bb.2:
	s_load_b32 s8, s[0:1], 0x28
	s_waitcnt lgkmcnt(0)
	v_dual_mov_b32 v2, 0 :: v_dual_mov_b32 v1, s8
	global_store_b64 v2, v[1:2], s[2:3]
.LBB18_3:
	s_or_b32 exec_lo, exec_lo, s7
	s_cmp_lt_i32 s6, 1
	s_cbranch_scc1 .LBB18_9
; %bb.4:
	s_clause 0x1
	s_load_b64 s[8:9], s[0:1], 0x10
	s_load_b32 s1, s[0:1], 0x18
	v_mov_b32_e32 v1, v0
	s_mov_b32 s7, 0
	s_mov_b64 s[10:11], 0
	s_mov_b32 s12, s7
                                        ; implicit-def: $sgpr13
	s_set_inst_prefetch_distance 0x1
	s_branch .LBB18_6
	.p2align	6
.LBB18_5:                               ;   in Loop: Header=BB18_6 Depth=1
	s_or_b32 exec_lo, exec_lo, s0
	s_delay_alu instid0(SALU_CYCLE_1) | instskip(NEXT) | instid1(SALU_CYCLE_1)
	s_and_b32 s0, exec_lo, s13
	s_or_b32 s12, s0, s12
	s_delay_alu instid0(SALU_CYCLE_1)
	s_and_not1_b32 exec_lo, exec_lo, s12
	s_cbranch_execz .LBB18_8
.LBB18_6:                               ; =>This Inner Loop Header: Depth=1
	v_ashrrev_i32_e32 v2, 31, v1
	s_or_b32 s13, s13, exec_lo
	s_delay_alu instid0(VALU_DEP_1) | instskip(SKIP_1) | instid1(VALU_DEP_1)
	v_lshlrev_b64 v[2:3], 2, v[1:2]
	s_waitcnt lgkmcnt(0)
	v_add_co_u32 v2, vcc_lo, s8, v2
	s_delay_alu instid0(VALU_DEP_2) | instskip(SKIP_3) | instid1(VALU_DEP_1)
	v_add_co_ci_u32_e32 v3, vcc_lo, s9, v3, vcc_lo
	global_load_b32 v2, v[2:3], off
	s_waitcnt vmcnt(0)
	v_subrev_nc_u32_e32 v2, s1, v2
	v_cmp_lt_i32_e32 vcc_lo, -1, v2
	v_cmp_gt_i32_e64 s0, s5, v2
	v_dual_mov_b32 v2, s10 :: v_dual_mov_b32 v3, s11
	s_delay_alu instid0(VALU_DEP_2) | instskip(NEXT) | instid1(SALU_CYCLE_1)
	s_and_b32 s14, vcc_lo, s0
	s_and_saveexec_b32 s0, s14
	s_cbranch_execz .LBB18_5
; %bb.7:                                ;   in Loop: Header=BB18_6 Depth=1
	s_add_u32 s10, s10, 1
	s_addc_u32 s11, s11, 0
	v_dual_mov_b32 v2, s6 :: v_dual_add_nc_u32 v1, s4, v1
	s_cmp_eq_u64 s[6:7], s[10:11]
	v_mov_b32_e32 v3, s7
	s_cselect_b32 s14, -1, 0
	s_and_not1_b32 s13, s13, exec_lo
	s_and_b32 s14, s14, exec_lo
	s_delay_alu instid0(SALU_CYCLE_1)
	s_or_b32 s13, s13, s14
	s_branch .LBB18_5
.LBB18_8:
	s_set_inst_prefetch_distance 0x2
	s_or_b32 exec_lo, exec_lo, s12
	s_branch .LBB18_10
.LBB18_9:
	v_mov_b32_e32 v2, 0
	v_mov_b32_e32 v3, 0
.LBB18_10:
	v_ashrrev_i32_e32 v1, 31, v0
	s_delay_alu instid0(VALU_DEP_1) | instskip(SKIP_1) | instid1(VALU_DEP_1)
	v_lshlrev_b64 v[0:1], 3, v[0:1]
	s_waitcnt lgkmcnt(0)
	v_add_co_u32 v0, vcc_lo, s2, v0
	s_delay_alu instid0(VALU_DEP_2)
	v_add_co_ci_u32_e32 v1, vcc_lo, s3, v1, vcc_lo
	global_store_b64 v[0:1], v[2:3], off offset:8
.LBB18_11:
	s_nop 0
	s_sendmsg sendmsg(MSG_DEALLOC_VGPRS)
	s_endpgm
	.section	.rodata,"a",@progbits
	.p2align	6, 0x0
	.amdhsa_kernel _ZN9rocsparseL19ell2csr_nnz_per_rowILj256EliEEvT1_S1_S1_PKS1_21rocsparse_index_base_PT0_S4_
		.amdhsa_group_segment_fixed_size 0
		.amdhsa_private_segment_fixed_size 0
		.amdhsa_kernarg_size 44
		.amdhsa_user_sgpr_count 15
		.amdhsa_user_sgpr_dispatch_ptr 0
		.amdhsa_user_sgpr_queue_ptr 0
		.amdhsa_user_sgpr_kernarg_segment_ptr 1
		.amdhsa_user_sgpr_dispatch_id 0
		.amdhsa_user_sgpr_private_segment_size 0
		.amdhsa_wavefront_size32 1
		.amdhsa_uses_dynamic_stack 0
		.amdhsa_enable_private_segment 0
		.amdhsa_system_sgpr_workgroup_id_x 1
		.amdhsa_system_sgpr_workgroup_id_y 0
		.amdhsa_system_sgpr_workgroup_id_z 0
		.amdhsa_system_sgpr_workgroup_info 0
		.amdhsa_system_vgpr_workitem_id 0
		.amdhsa_next_free_vgpr 4
		.amdhsa_next_free_sgpr 16
		.amdhsa_reserve_vcc 1
		.amdhsa_float_round_mode_32 0
		.amdhsa_float_round_mode_16_64 0
		.amdhsa_float_denorm_mode_32 3
		.amdhsa_float_denorm_mode_16_64 3
		.amdhsa_dx10_clamp 1
		.amdhsa_ieee_mode 1
		.amdhsa_fp16_overflow 0
		.amdhsa_workgroup_processor_mode 1
		.amdhsa_memory_ordered 1
		.amdhsa_forward_progress 0
		.amdhsa_shared_vgpr_count 0
		.amdhsa_exception_fp_ieee_invalid_op 0
		.amdhsa_exception_fp_denorm_src 0
		.amdhsa_exception_fp_ieee_div_zero 0
		.amdhsa_exception_fp_ieee_overflow 0
		.amdhsa_exception_fp_ieee_underflow 0
		.amdhsa_exception_fp_ieee_inexact 0
		.amdhsa_exception_int_div_zero 0
	.end_amdhsa_kernel
	.section	.text._ZN9rocsparseL19ell2csr_nnz_per_rowILj256EliEEvT1_S1_S1_PKS1_21rocsparse_index_base_PT0_S4_,"axG",@progbits,_ZN9rocsparseL19ell2csr_nnz_per_rowILj256EliEEvT1_S1_S1_PKS1_21rocsparse_index_base_PT0_S4_,comdat
.Lfunc_end18:
	.size	_ZN9rocsparseL19ell2csr_nnz_per_rowILj256EliEEvT1_S1_S1_PKS1_21rocsparse_index_base_PT0_S4_, .Lfunc_end18-_ZN9rocsparseL19ell2csr_nnz_per_rowILj256EliEEvT1_S1_S1_PKS1_21rocsparse_index_base_PT0_S4_
                                        ; -- End function
	.section	.AMDGPU.csdata,"",@progbits
; Kernel info:
; codeLenInByte = 388
; NumSgprs: 18
; NumVgprs: 4
; ScratchSize: 0
; MemoryBound: 0
; FloatMode: 240
; IeeeMode: 1
; LDSByteSize: 0 bytes/workgroup (compile time only)
; SGPRBlocks: 2
; VGPRBlocks: 0
; NumSGPRsForWavesPerEU: 18
; NumVGPRsForWavesPerEU: 4
; Occupancy: 16
; WaveLimiterHint : 0
; COMPUTE_PGM_RSRC2:SCRATCH_EN: 0
; COMPUTE_PGM_RSRC2:USER_SGPR: 15
; COMPUTE_PGM_RSRC2:TRAP_HANDLER: 0
; COMPUTE_PGM_RSRC2:TGID_X_EN: 1
; COMPUTE_PGM_RSRC2:TGID_Y_EN: 0
; COMPUTE_PGM_RSRC2:TGID_Z_EN: 0
; COMPUTE_PGM_RSRC2:TIDIG_COMP_CNT: 0
	.section	.text._ZN9rocsparseL18ell2csr_index_baseILj1ElEEvPT0_,"axG",@progbits,_ZN9rocsparseL18ell2csr_index_baseILj1ElEEvPT0_,comdat
	.globl	_ZN9rocsparseL18ell2csr_index_baseILj1ElEEvPT0_ ; -- Begin function _ZN9rocsparseL18ell2csr_index_baseILj1ElEEvPT0_
	.p2align	8
	.type	_ZN9rocsparseL18ell2csr_index_baseILj1ElEEvPT0_,@function
_ZN9rocsparseL18ell2csr_index_baseILj1ElEEvPT0_: ; @_ZN9rocsparseL18ell2csr_index_baseILj1ElEEvPT0_
; %bb.0:
	s_load_b64 s[0:1], s[0:1], 0x0
	s_waitcnt lgkmcnt(0)
	s_load_b64 s[2:3], s[0:1], 0x0
	s_waitcnt lgkmcnt(0)
	s_add_u32 s2, s2, -1
	s_addc_u32 s3, s3, -1
	v_mov_b32_e32 v0, s2
	v_dual_mov_b32 v2, 0 :: v_dual_mov_b32 v1, s3
	global_store_b64 v2, v[0:1], s[0:1]
	s_nop 0
	s_sendmsg sendmsg(MSG_DEALLOC_VGPRS)
	s_endpgm
	.section	.rodata,"a",@progbits
	.p2align	6, 0x0
	.amdhsa_kernel _ZN9rocsparseL18ell2csr_index_baseILj1ElEEvPT0_
		.amdhsa_group_segment_fixed_size 0
		.amdhsa_private_segment_fixed_size 0
		.amdhsa_kernarg_size 8
		.amdhsa_user_sgpr_count 15
		.amdhsa_user_sgpr_dispatch_ptr 0
		.amdhsa_user_sgpr_queue_ptr 0
		.amdhsa_user_sgpr_kernarg_segment_ptr 1
		.amdhsa_user_sgpr_dispatch_id 0
		.amdhsa_user_sgpr_private_segment_size 0
		.amdhsa_wavefront_size32 1
		.amdhsa_uses_dynamic_stack 0
		.amdhsa_enable_private_segment 0
		.amdhsa_system_sgpr_workgroup_id_x 1
		.amdhsa_system_sgpr_workgroup_id_y 0
		.amdhsa_system_sgpr_workgroup_id_z 0
		.amdhsa_system_sgpr_workgroup_info 0
		.amdhsa_system_vgpr_workitem_id 0
		.amdhsa_next_free_vgpr 3
		.amdhsa_next_free_sgpr 4
		.amdhsa_reserve_vcc 0
		.amdhsa_float_round_mode_32 0
		.amdhsa_float_round_mode_16_64 0
		.amdhsa_float_denorm_mode_32 3
		.amdhsa_float_denorm_mode_16_64 3
		.amdhsa_dx10_clamp 1
		.amdhsa_ieee_mode 1
		.amdhsa_fp16_overflow 0
		.amdhsa_workgroup_processor_mode 1
		.amdhsa_memory_ordered 1
		.amdhsa_forward_progress 0
		.amdhsa_shared_vgpr_count 0
		.amdhsa_exception_fp_ieee_invalid_op 0
		.amdhsa_exception_fp_denorm_src 0
		.amdhsa_exception_fp_ieee_div_zero 0
		.amdhsa_exception_fp_ieee_overflow 0
		.amdhsa_exception_fp_ieee_underflow 0
		.amdhsa_exception_fp_ieee_inexact 0
		.amdhsa_exception_int_div_zero 0
	.end_amdhsa_kernel
	.section	.text._ZN9rocsparseL18ell2csr_index_baseILj1ElEEvPT0_,"axG",@progbits,_ZN9rocsparseL18ell2csr_index_baseILj1ElEEvPT0_,comdat
.Lfunc_end19:
	.size	_ZN9rocsparseL18ell2csr_index_baseILj1ElEEvPT0_, .Lfunc_end19-_ZN9rocsparseL18ell2csr_index_baseILj1ElEEvPT0_
                                        ; -- End function
	.section	.AMDGPU.csdata,"",@progbits
; Kernel info:
; codeLenInByte = 64
; NumSgprs: 4
; NumVgprs: 3
; ScratchSize: 0
; MemoryBound: 1
; FloatMode: 240
; IeeeMode: 1
; LDSByteSize: 0 bytes/workgroup (compile time only)
; SGPRBlocks: 0
; VGPRBlocks: 0
; NumSGPRsForWavesPerEU: 4
; NumVGPRsForWavesPerEU: 3
; Occupancy: 16
; WaveLimiterHint : 1
; COMPUTE_PGM_RSRC2:SCRATCH_EN: 0
; COMPUTE_PGM_RSRC2:USER_SGPR: 15
; COMPUTE_PGM_RSRC2:TRAP_HANDLER: 0
; COMPUTE_PGM_RSRC2:TGID_X_EN: 1
; COMPUTE_PGM_RSRC2:TGID_Y_EN: 0
; COMPUTE_PGM_RSRC2:TGID_Z_EN: 0
; COMPUTE_PGM_RSRC2:TIDIG_COMP_CNT: 0
	.section	.text._ZN9rocsparseL19ell2csr_nnz_per_rowILj256EilEEvT1_S1_S1_PKS1_21rocsparse_index_base_PT0_S4_,"axG",@progbits,_ZN9rocsparseL19ell2csr_nnz_per_rowILj256EilEEvT1_S1_S1_PKS1_21rocsparse_index_base_PT0_S4_,comdat
	.globl	_ZN9rocsparseL19ell2csr_nnz_per_rowILj256EilEEvT1_S1_S1_PKS1_21rocsparse_index_base_PT0_S4_ ; -- Begin function _ZN9rocsparseL19ell2csr_nnz_per_rowILj256EilEEvT1_S1_S1_PKS1_21rocsparse_index_base_PT0_S4_
	.p2align	8
	.type	_ZN9rocsparseL19ell2csr_nnz_per_rowILj256EilEEvT1_S1_S1_PKS1_21rocsparse_index_base_PT0_S4_,@function
_ZN9rocsparseL19ell2csr_nnz_per_rowILj256EilEEvT1_S1_S1_PKS1_21rocsparse_index_base_PT0_S4_: ; @_ZN9rocsparseL19ell2csr_nnz_per_rowILj256EilEEvT1_S1_S1_PKS1_21rocsparse_index_base_PT0_S4_
; %bb.0:
	s_load_b128 s[4:7], s[0:1], 0x0
	s_mov_b32 s12, s15
	s_mov_b32 s13, 0
	s_delay_alu instid0(SALU_CYCLE_1) | instskip(NEXT) | instid1(SALU_CYCLE_1)
	s_lshl_b64 s[2:3], s[12:13], 8
	v_or_b32_e32 v1, s2, v0
	v_mov_b32_e32 v2, s3
	s_mov_b32 s2, exec_lo
	s_waitcnt lgkmcnt(0)
	s_delay_alu instid0(VALU_DEP_1)
	v_cmpx_gt_i64_e64 s[4:5], v[1:2]
	s_cbranch_execz .LBB20_11
; %bb.1:
	s_clause 0x1
	s_load_b64 s[8:9], s[0:1], 0x10
	s_load_b64 s[2:3], s[0:1], 0x28
	s_mov_b32 s5, exec_lo
	v_cmpx_eq_u64_e32 0, v[1:2]
	s_cbranch_execz .LBB20_3
; %bb.2:
	s_load_b32 s10, s[0:1], 0x30
	s_waitcnt lgkmcnt(0)
	v_dual_mov_b32 v3, 0 :: v_dual_mov_b32 v4, s10
	global_store_b32 v3, v4, s[2:3]
.LBB20_3:
	s_or_b32 exec_lo, exec_lo, s5
	s_waitcnt lgkmcnt(0)
	v_cmp_lt_i64_e64 s5, s[8:9], 1
	s_delay_alu instid0(VALU_DEP_1)
	s_and_b32 vcc_lo, exec_lo, s5
	s_cbranch_vccnz .LBB20_9
; %bb.4:
	s_clause 0x1
	s_load_b64 s[10:11], s[0:1], 0x18
	s_load_b32 s1, s[0:1], 0x20
	s_lshl_b32 s0, s12, 8
	v_mov_b32_e32 v3, 0
	v_or_b32_e32 v4, s0, v0
	s_mov_b32 s12, 0
	s_mov_b32 s13, s4
	s_mov_b64 s[4:5], 0
                                        ; implicit-def: $sgpr14
	s_set_inst_prefetch_distance 0x1
	s_branch .LBB20_6
	.p2align	6
.LBB20_5:                               ;   in Loop: Header=BB20_6 Depth=1
	s_or_b32 exec_lo, exec_lo, s0
	s_delay_alu instid0(SALU_CYCLE_1) | instskip(NEXT) | instid1(SALU_CYCLE_1)
	s_and_b32 s0, exec_lo, s14
	s_or_b32 s12, s0, s12
	s_delay_alu instid0(SALU_CYCLE_1)
	s_and_not1_b32 exec_lo, exec_lo, s12
	s_cbranch_execz .LBB20_8
.LBB20_6:                               ; =>This Inner Loop Header: Depth=1
	v_ashrrev_i64 v[5:6], 29, v[3:4]
	s_or_b32 s14, s14, exec_lo
	s_waitcnt lgkmcnt(0)
	s_delay_alu instid0(VALU_DEP_1) | instskip(NEXT) | instid1(VALU_DEP_2)
	v_add_co_u32 v5, vcc_lo, s10, v5
	v_add_co_ci_u32_e32 v6, vcc_lo, s11, v6, vcc_lo
	global_load_b64 v[5:6], v[5:6], off
	s_waitcnt vmcnt(0)
	v_sub_co_u32 v5, vcc_lo, v5, s1
	v_subrev_co_ci_u32_e32 v6, vcc_lo, 0, v6, vcc_lo
	s_delay_alu instid0(VALU_DEP_1) | instskip(SKIP_2) | instid1(VALU_DEP_2)
	v_cmp_lt_i64_e32 vcc_lo, -1, v[5:6]
	v_cmp_gt_i64_e64 s0, s[6:7], v[5:6]
	v_dual_mov_b32 v6, s5 :: v_dual_mov_b32 v5, s4
	s_and_b32 s15, vcc_lo, s0
	s_delay_alu instid0(SALU_CYCLE_1)
	s_and_saveexec_b32 s0, s15
	s_cbranch_execz .LBB20_5
; %bb.7:                                ;   in Loop: Header=BB20_6 Depth=1
	s_add_u32 s4, s4, 1
	s_addc_u32 s5, s5, 0
	v_add_co_u32 v3, vcc_lo, v3, 0
	v_cmp_ge_i64_e64 s15, s[4:5], s[8:9]
	v_add_co_ci_u32_e32 v4, vcc_lo, s13, v4, vcc_lo
	v_dual_mov_b32 v5, s8 :: v_dual_mov_b32 v6, s9
	s_and_not1_b32 s14, s14, exec_lo
	s_delay_alu instid0(VALU_DEP_3) | instskip(NEXT) | instid1(SALU_CYCLE_1)
	s_and_b32 s15, s15, exec_lo
	s_or_b32 s14, s14, s15
	s_branch .LBB20_5
.LBB20_8:
	s_set_inst_prefetch_distance 0x2
	s_or_b32 exec_lo, exec_lo, s12
	s_branch .LBB20_10
.LBB20_9:
	v_mov_b32_e32 v5, 0
.LBB20_10:
	v_lshlrev_b64 v[0:1], 2, v[1:2]
	s_delay_alu instid0(VALU_DEP_1) | instskip(NEXT) | instid1(VALU_DEP_2)
	v_add_co_u32 v0, vcc_lo, s2, v0
	v_add_co_ci_u32_e32 v1, vcc_lo, s3, v1, vcc_lo
	global_store_b32 v[0:1], v5, off offset:4
.LBB20_11:
	s_nop 0
	s_sendmsg sendmsg(MSG_DEALLOC_VGPRS)
	s_endpgm
	.section	.rodata,"a",@progbits
	.p2align	6, 0x0
	.amdhsa_kernel _ZN9rocsparseL19ell2csr_nnz_per_rowILj256EilEEvT1_S1_S1_PKS1_21rocsparse_index_base_PT0_S4_
		.amdhsa_group_segment_fixed_size 0
		.amdhsa_private_segment_fixed_size 0
		.amdhsa_kernarg_size 52
		.amdhsa_user_sgpr_count 15
		.amdhsa_user_sgpr_dispatch_ptr 0
		.amdhsa_user_sgpr_queue_ptr 0
		.amdhsa_user_sgpr_kernarg_segment_ptr 1
		.amdhsa_user_sgpr_dispatch_id 0
		.amdhsa_user_sgpr_private_segment_size 0
		.amdhsa_wavefront_size32 1
		.amdhsa_uses_dynamic_stack 0
		.amdhsa_enable_private_segment 0
		.amdhsa_system_sgpr_workgroup_id_x 1
		.amdhsa_system_sgpr_workgroup_id_y 0
		.amdhsa_system_sgpr_workgroup_id_z 0
		.amdhsa_system_sgpr_workgroup_info 0
		.amdhsa_system_vgpr_workitem_id 0
		.amdhsa_next_free_vgpr 7
		.amdhsa_next_free_sgpr 16
		.amdhsa_reserve_vcc 1
		.amdhsa_float_round_mode_32 0
		.amdhsa_float_round_mode_16_64 0
		.amdhsa_float_denorm_mode_32 3
		.amdhsa_float_denorm_mode_16_64 3
		.amdhsa_dx10_clamp 1
		.amdhsa_ieee_mode 1
		.amdhsa_fp16_overflow 0
		.amdhsa_workgroup_processor_mode 1
		.amdhsa_memory_ordered 1
		.amdhsa_forward_progress 0
		.amdhsa_shared_vgpr_count 0
		.amdhsa_exception_fp_ieee_invalid_op 0
		.amdhsa_exception_fp_denorm_src 0
		.amdhsa_exception_fp_ieee_div_zero 0
		.amdhsa_exception_fp_ieee_overflow 0
		.amdhsa_exception_fp_ieee_underflow 0
		.amdhsa_exception_fp_ieee_inexact 0
		.amdhsa_exception_int_div_zero 0
	.end_amdhsa_kernel
	.section	.text._ZN9rocsparseL19ell2csr_nnz_per_rowILj256EilEEvT1_S1_S1_PKS1_21rocsparse_index_base_PT0_S4_,"axG",@progbits,_ZN9rocsparseL19ell2csr_nnz_per_rowILj256EilEEvT1_S1_S1_PKS1_21rocsparse_index_base_PT0_S4_,comdat
.Lfunc_end20:
	.size	_ZN9rocsparseL19ell2csr_nnz_per_rowILj256EilEEvT1_S1_S1_PKS1_21rocsparse_index_base_PT0_S4_, .Lfunc_end20-_ZN9rocsparseL19ell2csr_nnz_per_rowILj256EilEEvT1_S1_S1_PKS1_21rocsparse_index_base_PT0_S4_
                                        ; -- End function
	.section	.AMDGPU.csdata,"",@progbits
; Kernel info:
; codeLenInByte = 436
; NumSgprs: 18
; NumVgprs: 7
; ScratchSize: 0
; MemoryBound: 0
; FloatMode: 240
; IeeeMode: 1
; LDSByteSize: 0 bytes/workgroup (compile time only)
; SGPRBlocks: 2
; VGPRBlocks: 0
; NumSGPRsForWavesPerEU: 18
; NumVGPRsForWavesPerEU: 7
; Occupancy: 16
; WaveLimiterHint : 0
; COMPUTE_PGM_RSRC2:SCRATCH_EN: 0
; COMPUTE_PGM_RSRC2:USER_SGPR: 15
; COMPUTE_PGM_RSRC2:TRAP_HANDLER: 0
; COMPUTE_PGM_RSRC2:TGID_X_EN: 1
; COMPUTE_PGM_RSRC2:TGID_Y_EN: 0
; COMPUTE_PGM_RSRC2:TGID_Z_EN: 0
; COMPUTE_PGM_RSRC2:TIDIG_COMP_CNT: 0
	.section	.text._ZN9rocsparseL19ell2csr_nnz_per_rowILj256EllEEvT1_S1_S1_PKS1_21rocsparse_index_base_PT0_S4_,"axG",@progbits,_ZN9rocsparseL19ell2csr_nnz_per_rowILj256EllEEvT1_S1_S1_PKS1_21rocsparse_index_base_PT0_S4_,comdat
	.globl	_ZN9rocsparseL19ell2csr_nnz_per_rowILj256EllEEvT1_S1_S1_PKS1_21rocsparse_index_base_PT0_S4_ ; -- Begin function _ZN9rocsparseL19ell2csr_nnz_per_rowILj256EllEEvT1_S1_S1_PKS1_21rocsparse_index_base_PT0_S4_
	.p2align	8
	.type	_ZN9rocsparseL19ell2csr_nnz_per_rowILj256EllEEvT1_S1_S1_PKS1_21rocsparse_index_base_PT0_S4_,@function
_ZN9rocsparseL19ell2csr_nnz_per_rowILj256EllEEvT1_S1_S1_PKS1_21rocsparse_index_base_PT0_S4_: ; @_ZN9rocsparseL19ell2csr_nnz_per_rowILj256EllEEvT1_S1_S1_PKS1_21rocsparse_index_base_PT0_S4_
; %bb.0:
	s_load_b128 s[4:7], s[0:1], 0x0
	s_mov_b32 s2, s15
	s_mov_b32 s3, 0
	s_delay_alu instid0(SALU_CYCLE_1) | instskip(NEXT) | instid1(SALU_CYCLE_1)
	s_lshl_b64 s[2:3], s[2:3], 8
	v_or_b32_e32 v0, s2, v0
	v_mov_b32_e32 v1, s3
	s_mov_b32 s2, exec_lo
	s_waitcnt lgkmcnt(0)
	s_delay_alu instid0(VALU_DEP_1)
	v_cmpx_gt_i64_e64 s[4:5], v[0:1]
	s_cbranch_execz .LBB21_11
; %bb.1:
	s_clause 0x1
	s_load_b64 s[8:9], s[0:1], 0x10
	s_load_b64 s[2:3], s[0:1], 0x28
	s_mov_b32 s10, exec_lo
	v_cmpx_eq_u64_e32 0, v[0:1]
	s_cbranch_execz .LBB21_3
; %bb.2:
	s_load_b32 s11, s[0:1], 0x30
	s_waitcnt lgkmcnt(0)
	v_dual_mov_b32 v3, 0 :: v_dual_mov_b32 v2, s11
	global_store_b64 v3, v[2:3], s[2:3]
.LBB21_3:
	s_or_b32 exec_lo, exec_lo, s10
	s_waitcnt lgkmcnt(0)
	v_cmp_lt_i64_e64 s10, s[8:9], 1
	v_lshlrev_b64 v[0:1], 3, v[0:1]
	s_delay_alu instid0(VALU_DEP_2)
	s_and_b32 vcc_lo, exec_lo, s10
	s_cbranch_vccnz .LBB21_9
; %bb.4:
	s_clause 0x1
	s_load_b64 s[10:11], s[0:1], 0x18
	s_load_b32 s1, s[0:1], 0x20
	s_mov_b32 s12, 0
	s_lshl_b64 s[4:5], s[4:5], 3
                                        ; implicit-def: $sgpr13
	s_waitcnt lgkmcnt(0)
	v_add_co_u32 v2, vcc_lo, s10, v0
	v_add_co_ci_u32_e32 v3, vcc_lo, s11, v1, vcc_lo
	s_mov_b64 s[10:11], 0
	s_set_inst_prefetch_distance 0x1
	s_branch .LBB21_6
	.p2align	6
.LBB21_5:                               ;   in Loop: Header=BB21_6 Depth=1
	s_or_b32 exec_lo, exec_lo, s0
	s_delay_alu instid0(SALU_CYCLE_1) | instskip(NEXT) | instid1(SALU_CYCLE_1)
	s_and_b32 s0, exec_lo, s13
	s_or_b32 s12, s0, s12
	s_delay_alu instid0(SALU_CYCLE_1)
	s_and_not1_b32 exec_lo, exec_lo, s12
	s_cbranch_execz .LBB21_8
.LBB21_6:                               ; =>This Inner Loop Header: Depth=1
	global_load_b64 v[4:5], v[2:3], off
	s_or_b32 s13, s13, exec_lo
	s_waitcnt vmcnt(0)
	v_sub_co_u32 v4, vcc_lo, v4, s1
	v_subrev_co_ci_u32_e32 v5, vcc_lo, 0, v5, vcc_lo
	s_delay_alu instid0(VALU_DEP_1) | instskip(SKIP_2) | instid1(VALU_DEP_2)
	v_cmp_lt_i64_e32 vcc_lo, -1, v[4:5]
	v_cmp_gt_i64_e64 s0, s[6:7], v[4:5]
	v_dual_mov_b32 v4, s10 :: v_dual_mov_b32 v5, s11
	s_and_b32 s14, vcc_lo, s0
	s_delay_alu instid0(SALU_CYCLE_1)
	s_and_saveexec_b32 s0, s14
	s_cbranch_execz .LBB21_5
; %bb.7:                                ;   in Loop: Header=BB21_6 Depth=1
	s_add_u32 s10, s10, 1
	s_addc_u32 s11, s11, 0
	v_add_co_u32 v2, vcc_lo, v2, s4
	s_cmp_eq_u64 s[8:9], s[10:11]
	v_add_co_ci_u32_e32 v3, vcc_lo, s5, v3, vcc_lo
	s_cselect_b32 s14, -1, 0
	v_dual_mov_b32 v4, s8 :: v_dual_mov_b32 v5, s9
	s_and_not1_b32 s13, s13, exec_lo
	s_and_b32 s14, s14, exec_lo
	s_delay_alu instid0(SALU_CYCLE_1)
	s_or_b32 s13, s13, s14
	s_branch .LBB21_5
.LBB21_8:
	s_set_inst_prefetch_distance 0x2
	s_or_b32 exec_lo, exec_lo, s12
	s_branch .LBB21_10
.LBB21_9:
	v_mov_b32_e32 v4, 0
	v_mov_b32_e32 v5, 0
.LBB21_10:
	s_delay_alu instid0(VALU_DEP_3)
	v_add_co_u32 v0, vcc_lo, s2, v0
	v_add_co_ci_u32_e32 v1, vcc_lo, s3, v1, vcc_lo
	global_store_b64 v[0:1], v[4:5], off offset:8
.LBB21_11:
	s_nop 0
	s_sendmsg sendmsg(MSG_DEALLOC_VGPRS)
	s_endpgm
	.section	.rodata,"a",@progbits
	.p2align	6, 0x0
	.amdhsa_kernel _ZN9rocsparseL19ell2csr_nnz_per_rowILj256EllEEvT1_S1_S1_PKS1_21rocsparse_index_base_PT0_S4_
		.amdhsa_group_segment_fixed_size 0
		.amdhsa_private_segment_fixed_size 0
		.amdhsa_kernarg_size 52
		.amdhsa_user_sgpr_count 15
		.amdhsa_user_sgpr_dispatch_ptr 0
		.amdhsa_user_sgpr_queue_ptr 0
		.amdhsa_user_sgpr_kernarg_segment_ptr 1
		.amdhsa_user_sgpr_dispatch_id 0
		.amdhsa_user_sgpr_private_segment_size 0
		.amdhsa_wavefront_size32 1
		.amdhsa_uses_dynamic_stack 0
		.amdhsa_enable_private_segment 0
		.amdhsa_system_sgpr_workgroup_id_x 1
		.amdhsa_system_sgpr_workgroup_id_y 0
		.amdhsa_system_sgpr_workgroup_id_z 0
		.amdhsa_system_sgpr_workgroup_info 0
		.amdhsa_system_vgpr_workitem_id 0
		.amdhsa_next_free_vgpr 6
		.amdhsa_next_free_sgpr 16
		.amdhsa_reserve_vcc 1
		.amdhsa_float_round_mode_32 0
		.amdhsa_float_round_mode_16_64 0
		.amdhsa_float_denorm_mode_32 3
		.amdhsa_float_denorm_mode_16_64 3
		.amdhsa_dx10_clamp 1
		.amdhsa_ieee_mode 1
		.amdhsa_fp16_overflow 0
		.amdhsa_workgroup_processor_mode 1
		.amdhsa_memory_ordered 1
		.amdhsa_forward_progress 0
		.amdhsa_shared_vgpr_count 0
		.amdhsa_exception_fp_ieee_invalid_op 0
		.amdhsa_exception_fp_denorm_src 0
		.amdhsa_exception_fp_ieee_div_zero 0
		.amdhsa_exception_fp_ieee_overflow 0
		.amdhsa_exception_fp_ieee_underflow 0
		.amdhsa_exception_fp_ieee_inexact 0
		.amdhsa_exception_int_div_zero 0
	.end_amdhsa_kernel
	.section	.text._ZN9rocsparseL19ell2csr_nnz_per_rowILj256EllEEvT1_S1_S1_PKS1_21rocsparse_index_base_PT0_S4_,"axG",@progbits,_ZN9rocsparseL19ell2csr_nnz_per_rowILj256EllEEvT1_S1_S1_PKS1_21rocsparse_index_base_PT0_S4_,comdat
.Lfunc_end21:
	.size	_ZN9rocsparseL19ell2csr_nnz_per_rowILj256EllEEvT1_S1_S1_PKS1_21rocsparse_index_base_PT0_S4_, .Lfunc_end21-_ZN9rocsparseL19ell2csr_nnz_per_rowILj256EllEEvT1_S1_S1_PKS1_21rocsparse_index_base_PT0_S4_
                                        ; -- End function
	.section	.AMDGPU.csdata,"",@progbits
; Kernel info:
; codeLenInByte = 416
; NumSgprs: 18
; NumVgprs: 6
; ScratchSize: 0
; MemoryBound: 0
; FloatMode: 240
; IeeeMode: 1
; LDSByteSize: 0 bytes/workgroup (compile time only)
; SGPRBlocks: 2
; VGPRBlocks: 0
; NumSGPRsForWavesPerEU: 18
; NumVGPRsForWavesPerEU: 6
; Occupancy: 16
; WaveLimiterHint : 0
; COMPUTE_PGM_RSRC2:SCRATCH_EN: 0
; COMPUTE_PGM_RSRC2:USER_SGPR: 15
; COMPUTE_PGM_RSRC2:TRAP_HANDLER: 0
; COMPUTE_PGM_RSRC2:TGID_X_EN: 1
; COMPUTE_PGM_RSRC2:TGID_Y_EN: 0
; COMPUTE_PGM_RSRC2:TGID_Z_EN: 0
; COMPUTE_PGM_RSRC2:TIDIG_COMP_CNT: 0
	.text
	.p2alignl 7, 3214868480
	.fill 96, 4, 3214868480
	.type	__hip_cuid_dc481fc4ac53d00f,@object ; @__hip_cuid_dc481fc4ac53d00f
	.section	.bss,"aw",@nobits
	.globl	__hip_cuid_dc481fc4ac53d00f
__hip_cuid_dc481fc4ac53d00f:
	.byte	0                               ; 0x0
	.size	__hip_cuid_dc481fc4ac53d00f, 1

	.ident	"AMD clang version 19.0.0git (https://github.com/RadeonOpenCompute/llvm-project roc-6.4.0 25133 c7fe45cf4b819c5991fe208aaa96edf142730f1d)"
	.section	".note.GNU-stack","",@progbits
	.addrsig
	.addrsig_sym __hip_cuid_dc481fc4ac53d00f
	.amdgpu_metadata
---
amdhsa.kernels:
  - .args:
      - .offset:         0
        .size:           4
        .value_kind:     by_value
      - .offset:         4
        .size:           4
        .value_kind:     by_value
      - .offset:         8
        .size:           4
        .value_kind:     by_value
      - .actual_access:  read_only
        .address_space:  global
        .offset:         16
        .size:           8
        .value_kind:     global_buffer
      - .actual_access:  read_only
        .address_space:  global
        .offset:         24
        .size:           8
        .value_kind:     global_buffer
      - .offset:         32
        .size:           4
        .value_kind:     by_value
      - .actual_access:  read_only
        .address_space:  global
        .offset:         40
        .size:           8
        .value_kind:     global_buffer
      - .actual_access:  write_only
        .address_space:  global
        .offset:         48
        .size:           8
        .value_kind:     global_buffer
      - .actual_access:  write_only
        .address_space:  global
        .offset:         56
        .size:           8
        .value_kind:     global_buffer
      - .offset:         64
        .size:           4
        .value_kind:     by_value
    .group_segment_fixed_size: 0
    .kernarg_segment_align: 8
    .kernarg_segment_size: 68
    .language:       OpenCL C
    .language_version:
      - 2
      - 0
    .max_flat_workgroup_size: 256
    .name:           _ZN9rocsparseL12ell2csr_fillILj256EfiiEEvT2_S1_S1_PKS1_PKT0_21rocsparse_index_base_PKT1_PS1_PS4_S7_
    .private_segment_fixed_size: 0
    .sgpr_count:     19
    .sgpr_spill_count: 0
    .symbol:         _ZN9rocsparseL12ell2csr_fillILj256EfiiEEvT2_S1_S1_PKS1_PKT0_21rocsparse_index_base_PKT1_PS1_PS4_S7_.kd
    .uniform_work_group_size: 1
    .uses_dynamic_stack: false
    .vgpr_count:     8
    .vgpr_spill_count: 0
    .wavefront_size: 32
    .workgroup_processor_mode: 1
  - .args:
      - .offset:         0
        .size:           4
        .value_kind:     by_value
      - .offset:         4
        .size:           4
        .value_kind:     by_value
      - .offset:         8
        .size:           4
        .value_kind:     by_value
      - .actual_access:  read_only
        .address_space:  global
        .offset:         16
        .size:           8
        .value_kind:     global_buffer
      - .actual_access:  read_only
        .address_space:  global
        .offset:         24
        .size:           8
        .value_kind:     global_buffer
      - .offset:         32
        .size:           4
        .value_kind:     by_value
      - .actual_access:  read_only
        .address_space:  global
        .offset:         40
        .size:           8
        .value_kind:     global_buffer
      - .actual_access:  write_only
        .address_space:  global
        .offset:         48
        .size:           8
        .value_kind:     global_buffer
      - .actual_access:  write_only
        .address_space:  global
        .offset:         56
        .size:           8
        .value_kind:     global_buffer
      - .offset:         64
        .size:           4
        .value_kind:     by_value
    .group_segment_fixed_size: 0
    .kernarg_segment_align: 8
    .kernarg_segment_size: 68
    .language:       OpenCL C
    .language_version:
      - 2
      - 0
    .max_flat_workgroup_size: 256
    .name:           _ZN9rocsparseL12ell2csr_fillILj256E21rocsparse_complex_numIfEiiEEvT2_S3_S3_PKS3_PKT0_21rocsparse_index_base_PKT1_PS3_PS6_S9_
    .private_segment_fixed_size: 0
    .sgpr_count:     19
    .sgpr_spill_count: 0
    .symbol:         _ZN9rocsparseL12ell2csr_fillILj256E21rocsparse_complex_numIfEiiEEvT2_S3_S3_PKS3_PKT0_21rocsparse_index_base_PKT1_PS3_PS6_S9_.kd
    .uniform_work_group_size: 1
    .uses_dynamic_stack: false
    .vgpr_count:     11
    .vgpr_spill_count: 0
    .wavefront_size: 32
    .workgroup_processor_mode: 1
  - .args:
      - .offset:         0
        .size:           4
        .value_kind:     by_value
      - .offset:         4
        .size:           4
        .value_kind:     by_value
      - .offset:         8
        .size:           4
        .value_kind:     by_value
      - .actual_access:  read_only
        .address_space:  global
        .offset:         16
        .size:           8
        .value_kind:     global_buffer
      - .actual_access:  read_only
        .address_space:  global
        .offset:         24
        .size:           8
        .value_kind:     global_buffer
      - .offset:         32
        .size:           4
        .value_kind:     by_value
      - .actual_access:  read_only
        .address_space:  global
        .offset:         40
        .size:           8
        .value_kind:     global_buffer
      - .actual_access:  write_only
        .address_space:  global
        .offset:         48
        .size:           8
        .value_kind:     global_buffer
      - .actual_access:  write_only
        .address_space:  global
        .offset:         56
        .size:           8
        .value_kind:     global_buffer
      - .offset:         64
        .size:           4
        .value_kind:     by_value
    .group_segment_fixed_size: 0
    .kernarg_segment_align: 8
    .kernarg_segment_size: 68
    .language:       OpenCL C
    .language_version:
      - 2
      - 0
    .max_flat_workgroup_size: 256
    .name:           _ZN9rocsparseL12ell2csr_fillILj256EdiiEEvT2_S1_S1_PKS1_PKT0_21rocsparse_index_base_PKT1_PS1_PS4_S7_
    .private_segment_fixed_size: 0
    .sgpr_count:     19
    .sgpr_spill_count: 0
    .symbol:         _ZN9rocsparseL12ell2csr_fillILj256EdiiEEvT2_S1_S1_PKS1_PKT0_21rocsparse_index_base_PKT1_PS1_PS4_S7_.kd
    .uniform_work_group_size: 1
    .uses_dynamic_stack: false
    .vgpr_count:     11
    .vgpr_spill_count: 0
    .wavefront_size: 32
    .workgroup_processor_mode: 1
  - .args:
      - .offset:         0
        .size:           4
        .value_kind:     by_value
      - .offset:         4
        .size:           4
        .value_kind:     by_value
      - .offset:         8
        .size:           4
        .value_kind:     by_value
      - .actual_access:  read_only
        .address_space:  global
        .offset:         16
        .size:           8
        .value_kind:     global_buffer
      - .actual_access:  read_only
        .address_space:  global
        .offset:         24
        .size:           8
        .value_kind:     global_buffer
      - .offset:         32
        .size:           4
        .value_kind:     by_value
      - .actual_access:  read_only
        .address_space:  global
        .offset:         40
        .size:           8
        .value_kind:     global_buffer
      - .actual_access:  write_only
        .address_space:  global
        .offset:         48
        .size:           8
        .value_kind:     global_buffer
      - .actual_access:  write_only
        .address_space:  global
        .offset:         56
        .size:           8
        .value_kind:     global_buffer
      - .offset:         64
        .size:           4
        .value_kind:     by_value
    .group_segment_fixed_size: 0
    .kernarg_segment_align: 8
    .kernarg_segment_size: 68
    .language:       OpenCL C
    .language_version:
      - 2
      - 0
    .max_flat_workgroup_size: 256
    .name:           _ZN9rocsparseL12ell2csr_fillILj256E21rocsparse_complex_numIdEiiEEvT2_S3_S3_PKS3_PKT0_21rocsparse_index_base_PKT1_PS3_PS6_S9_
    .private_segment_fixed_size: 0
    .sgpr_count:     19
    .sgpr_spill_count: 0
    .symbol:         _ZN9rocsparseL12ell2csr_fillILj256E21rocsparse_complex_numIdEiiEEvT2_S3_S3_PKS3_PKT0_21rocsparse_index_base_PKT1_PS3_PS6_S9_.kd
    .uniform_work_group_size: 1
    .uses_dynamic_stack: false
    .vgpr_count:     13
    .vgpr_spill_count: 0
    .wavefront_size: 32
    .workgroup_processor_mode: 1
  - .args:
      - .offset:         0
        .size:           4
        .value_kind:     by_value
      - .offset:         4
        .size:           4
        .value_kind:     by_value
      - .offset:         8
        .size:           4
        .value_kind:     by_value
      - .actual_access:  read_only
        .address_space:  global
        .offset:         16
        .size:           8
        .value_kind:     global_buffer
      - .actual_access:  read_only
        .address_space:  global
        .offset:         24
        .size:           8
        .value_kind:     global_buffer
      - .offset:         32
        .size:           4
        .value_kind:     by_value
      - .actual_access:  read_only
        .address_space:  global
        .offset:         40
        .size:           8
        .value_kind:     global_buffer
      - .actual_access:  write_only
        .address_space:  global
        .offset:         48
        .size:           8
        .value_kind:     global_buffer
      - .actual_access:  write_only
        .address_space:  global
        .offset:         56
        .size:           8
        .value_kind:     global_buffer
      - .offset:         64
        .size:           4
        .value_kind:     by_value
    .group_segment_fixed_size: 0
    .kernarg_segment_align: 8
    .kernarg_segment_size: 68
    .language:       OpenCL C
    .language_version:
      - 2
      - 0
    .max_flat_workgroup_size: 256
    .name:           _ZN9rocsparseL12ell2csr_fillILj256EfliEEvT2_S1_S1_PKS1_PKT0_21rocsparse_index_base_PKT1_PS1_PS4_S7_
    .private_segment_fixed_size: 0
    .sgpr_count:     19
    .sgpr_spill_count: 0
    .symbol:         _ZN9rocsparseL12ell2csr_fillILj256EfliEEvT2_S1_S1_PKS1_PKT0_21rocsparse_index_base_PKT1_PS1_PS4_S7_.kd
    .uniform_work_group_size: 1
    .uses_dynamic_stack: false
    .vgpr_count:     9
    .vgpr_spill_count: 0
    .wavefront_size: 32
    .workgroup_processor_mode: 1
  - .args:
      - .offset:         0
        .size:           4
        .value_kind:     by_value
      - .offset:         4
        .size:           4
        .value_kind:     by_value
      - .offset:         8
        .size:           4
        .value_kind:     by_value
      - .actual_access:  read_only
        .address_space:  global
        .offset:         16
        .size:           8
        .value_kind:     global_buffer
      - .actual_access:  read_only
        .address_space:  global
        .offset:         24
        .size:           8
        .value_kind:     global_buffer
      - .offset:         32
        .size:           4
        .value_kind:     by_value
      - .actual_access:  read_only
        .address_space:  global
        .offset:         40
        .size:           8
        .value_kind:     global_buffer
      - .actual_access:  write_only
        .address_space:  global
        .offset:         48
        .size:           8
        .value_kind:     global_buffer
      - .actual_access:  write_only
        .address_space:  global
        .offset:         56
        .size:           8
        .value_kind:     global_buffer
      - .offset:         64
        .size:           4
        .value_kind:     by_value
    .group_segment_fixed_size: 0
    .kernarg_segment_align: 8
    .kernarg_segment_size: 68
    .language:       OpenCL C
    .language_version:
      - 2
      - 0
    .max_flat_workgroup_size: 256
    .name:           _ZN9rocsparseL12ell2csr_fillILj256E21rocsparse_complex_numIfEliEEvT2_S3_S3_PKS3_PKT0_21rocsparse_index_base_PKT1_PS3_PS6_S9_
    .private_segment_fixed_size: 0
    .sgpr_count:     19
    .sgpr_spill_count: 0
    .symbol:         _ZN9rocsparseL12ell2csr_fillILj256E21rocsparse_complex_numIfEliEEvT2_S3_S3_PKS3_PKT0_21rocsparse_index_base_PKT1_PS3_PS6_S9_.kd
    .uniform_work_group_size: 1
    .uses_dynamic_stack: false
    .vgpr_count:     13
    .vgpr_spill_count: 0
    .wavefront_size: 32
    .workgroup_processor_mode: 1
  - .args:
      - .offset:         0
        .size:           4
        .value_kind:     by_value
      - .offset:         4
        .size:           4
        .value_kind:     by_value
      - .offset:         8
        .size:           4
        .value_kind:     by_value
      - .actual_access:  read_only
        .address_space:  global
        .offset:         16
        .size:           8
        .value_kind:     global_buffer
      - .actual_access:  read_only
        .address_space:  global
        .offset:         24
        .size:           8
        .value_kind:     global_buffer
      - .offset:         32
        .size:           4
        .value_kind:     by_value
      - .actual_access:  read_only
        .address_space:  global
        .offset:         40
        .size:           8
        .value_kind:     global_buffer
      - .actual_access:  write_only
        .address_space:  global
        .offset:         48
        .size:           8
        .value_kind:     global_buffer
      - .actual_access:  write_only
        .address_space:  global
        .offset:         56
        .size:           8
        .value_kind:     global_buffer
      - .offset:         64
        .size:           4
        .value_kind:     by_value
    .group_segment_fixed_size: 0
    .kernarg_segment_align: 8
    .kernarg_segment_size: 68
    .language:       OpenCL C
    .language_version:
      - 2
      - 0
    .max_flat_workgroup_size: 256
    .name:           _ZN9rocsparseL12ell2csr_fillILj256EdliEEvT2_S1_S1_PKS1_PKT0_21rocsparse_index_base_PKT1_PS1_PS4_S7_
    .private_segment_fixed_size: 0
    .sgpr_count:     19
    .sgpr_spill_count: 0
    .symbol:         _ZN9rocsparseL12ell2csr_fillILj256EdliEEvT2_S1_S1_PKS1_PKT0_21rocsparse_index_base_PKT1_PS1_PS4_S7_.kd
    .uniform_work_group_size: 1
    .uses_dynamic_stack: false
    .vgpr_count:     13
    .vgpr_spill_count: 0
    .wavefront_size: 32
    .workgroup_processor_mode: 1
  - .args:
      - .offset:         0
        .size:           4
        .value_kind:     by_value
      - .offset:         4
        .size:           4
        .value_kind:     by_value
      - .offset:         8
        .size:           4
        .value_kind:     by_value
      - .actual_access:  read_only
        .address_space:  global
        .offset:         16
        .size:           8
        .value_kind:     global_buffer
      - .actual_access:  read_only
        .address_space:  global
        .offset:         24
        .size:           8
        .value_kind:     global_buffer
      - .offset:         32
        .size:           4
        .value_kind:     by_value
      - .actual_access:  read_only
        .address_space:  global
        .offset:         40
        .size:           8
        .value_kind:     global_buffer
      - .actual_access:  write_only
        .address_space:  global
        .offset:         48
        .size:           8
        .value_kind:     global_buffer
      - .actual_access:  write_only
        .address_space:  global
        .offset:         56
        .size:           8
        .value_kind:     global_buffer
      - .offset:         64
        .size:           4
        .value_kind:     by_value
    .group_segment_fixed_size: 0
    .kernarg_segment_align: 8
    .kernarg_segment_size: 68
    .language:       OpenCL C
    .language_version:
      - 2
      - 0
    .max_flat_workgroup_size: 256
    .name:           _ZN9rocsparseL12ell2csr_fillILj256E21rocsparse_complex_numIdEliEEvT2_S3_S3_PKS3_PKT0_21rocsparse_index_base_PKT1_PS3_PS6_S9_
    .private_segment_fixed_size: 0
    .sgpr_count:     19
    .sgpr_spill_count: 0
    .symbol:         _ZN9rocsparseL12ell2csr_fillILj256E21rocsparse_complex_numIdEliEEvT2_S3_S3_PKS3_PKT0_21rocsparse_index_base_PKT1_PS3_PS6_S9_.kd
    .uniform_work_group_size: 1
    .uses_dynamic_stack: false
    .vgpr_count:     15
    .vgpr_spill_count: 0
    .wavefront_size: 32
    .workgroup_processor_mode: 1
  - .args:
      - .offset:         0
        .size:           8
        .value_kind:     by_value
      - .offset:         8
        .size:           8
        .value_kind:     by_value
      - .offset:         16
        .size:           8
        .value_kind:     by_value
      - .actual_access:  read_only
        .address_space:  global
        .offset:         24
        .size:           8
        .value_kind:     global_buffer
      - .actual_access:  read_only
        .address_space:  global
        .offset:         32
        .size:           8
        .value_kind:     global_buffer
      - .offset:         40
        .size:           4
        .value_kind:     by_value
      - .actual_access:  read_only
        .address_space:  global
        .offset:         48
        .size:           8
        .value_kind:     global_buffer
      - .actual_access:  write_only
        .address_space:  global
        .offset:         56
        .size:           8
        .value_kind:     global_buffer
      - .actual_access:  write_only
        .address_space:  global
        .offset:         64
        .size:           8
        .value_kind:     global_buffer
      - .offset:         72
        .size:           4
        .value_kind:     by_value
    .group_segment_fixed_size: 0
    .kernarg_segment_align: 8
    .kernarg_segment_size: 76
    .language:       OpenCL C
    .language_version:
      - 2
      - 0
    .max_flat_workgroup_size: 256
    .name:           _ZN9rocsparseL12ell2csr_fillILj256EfilEEvT2_S1_S1_PKS1_PKT0_21rocsparse_index_base_PKT1_PS1_PS4_S7_
    .private_segment_fixed_size: 0
    .sgpr_count:     21
    .sgpr_spill_count: 0
    .symbol:         _ZN9rocsparseL12ell2csr_fillILj256EfilEEvT2_S1_S1_PKS1_PKT0_21rocsparse_index_base_PKT1_PS1_PS4_S7_.kd
    .uniform_work_group_size: 1
    .uses_dynamic_stack: false
    .vgpr_count:     12
    .vgpr_spill_count: 0
    .wavefront_size: 32
    .workgroup_processor_mode: 1
  - .args:
      - .offset:         0
        .size:           8
        .value_kind:     by_value
      - .offset:         8
        .size:           8
        .value_kind:     by_value
      - .offset:         16
        .size:           8
        .value_kind:     by_value
      - .actual_access:  read_only
        .address_space:  global
        .offset:         24
        .size:           8
        .value_kind:     global_buffer
      - .actual_access:  read_only
        .address_space:  global
        .offset:         32
        .size:           8
        .value_kind:     global_buffer
      - .offset:         40
        .size:           4
        .value_kind:     by_value
      - .actual_access:  read_only
        .address_space:  global
        .offset:         48
        .size:           8
        .value_kind:     global_buffer
      - .actual_access:  write_only
        .address_space:  global
        .offset:         56
        .size:           8
        .value_kind:     global_buffer
      - .actual_access:  write_only
        .address_space:  global
        .offset:         64
        .size:           8
        .value_kind:     global_buffer
      - .offset:         72
        .size:           4
        .value_kind:     by_value
    .group_segment_fixed_size: 0
    .kernarg_segment_align: 8
    .kernarg_segment_size: 76
    .language:       OpenCL C
    .language_version:
      - 2
      - 0
    .max_flat_workgroup_size: 256
    .name:           _ZN9rocsparseL12ell2csr_fillILj256E21rocsparse_complex_numIfEilEEvT2_S3_S3_PKS3_PKT0_21rocsparse_index_base_PKT1_PS3_PS6_S9_
    .private_segment_fixed_size: 0
    .sgpr_count:     21
    .sgpr_spill_count: 0
    .symbol:         _ZN9rocsparseL12ell2csr_fillILj256E21rocsparse_complex_numIfEilEEvT2_S3_S3_PKS3_PKT0_21rocsparse_index_base_PKT1_PS3_PS6_S9_.kd
    .uniform_work_group_size: 1
    .uses_dynamic_stack: false
    .vgpr_count:     12
    .vgpr_spill_count: 0
    .wavefront_size: 32
    .workgroup_processor_mode: 1
  - .args:
      - .offset:         0
        .size:           8
        .value_kind:     by_value
      - .offset:         8
        .size:           8
        .value_kind:     by_value
      - .offset:         16
        .size:           8
        .value_kind:     by_value
      - .actual_access:  read_only
        .address_space:  global
        .offset:         24
        .size:           8
        .value_kind:     global_buffer
      - .actual_access:  read_only
        .address_space:  global
        .offset:         32
        .size:           8
        .value_kind:     global_buffer
      - .offset:         40
        .size:           4
        .value_kind:     by_value
      - .actual_access:  read_only
        .address_space:  global
        .offset:         48
        .size:           8
        .value_kind:     global_buffer
      - .actual_access:  write_only
        .address_space:  global
        .offset:         56
        .size:           8
        .value_kind:     global_buffer
      - .actual_access:  write_only
        .address_space:  global
        .offset:         64
        .size:           8
        .value_kind:     global_buffer
      - .offset:         72
        .size:           4
        .value_kind:     by_value
    .group_segment_fixed_size: 0
    .kernarg_segment_align: 8
    .kernarg_segment_size: 76
    .language:       OpenCL C
    .language_version:
      - 2
      - 0
    .max_flat_workgroup_size: 256
    .name:           _ZN9rocsparseL12ell2csr_fillILj256EdilEEvT2_S1_S1_PKS1_PKT0_21rocsparse_index_base_PKT1_PS1_PS4_S7_
    .private_segment_fixed_size: 0
    .sgpr_count:     21
    .sgpr_spill_count: 0
    .symbol:         _ZN9rocsparseL12ell2csr_fillILj256EdilEEvT2_S1_S1_PKS1_PKT0_21rocsparse_index_base_PKT1_PS1_PS4_S7_.kd
    .uniform_work_group_size: 1
    .uses_dynamic_stack: false
    .vgpr_count:     12
    .vgpr_spill_count: 0
    .wavefront_size: 32
    .workgroup_processor_mode: 1
  - .args:
      - .offset:         0
        .size:           8
        .value_kind:     by_value
      - .offset:         8
        .size:           8
        .value_kind:     by_value
      - .offset:         16
        .size:           8
        .value_kind:     by_value
      - .actual_access:  read_only
        .address_space:  global
        .offset:         24
        .size:           8
        .value_kind:     global_buffer
      - .actual_access:  read_only
        .address_space:  global
        .offset:         32
        .size:           8
        .value_kind:     global_buffer
      - .offset:         40
        .size:           4
        .value_kind:     by_value
      - .actual_access:  read_only
        .address_space:  global
        .offset:         48
        .size:           8
        .value_kind:     global_buffer
      - .actual_access:  write_only
        .address_space:  global
        .offset:         56
        .size:           8
        .value_kind:     global_buffer
      - .actual_access:  write_only
        .address_space:  global
        .offset:         64
        .size:           8
        .value_kind:     global_buffer
      - .offset:         72
        .size:           4
        .value_kind:     by_value
    .group_segment_fixed_size: 0
    .kernarg_segment_align: 8
    .kernarg_segment_size: 76
    .language:       OpenCL C
    .language_version:
      - 2
      - 0
    .max_flat_workgroup_size: 256
    .name:           _ZN9rocsparseL12ell2csr_fillILj256E21rocsparse_complex_numIdEilEEvT2_S3_S3_PKS3_PKT0_21rocsparse_index_base_PKT1_PS3_PS6_S9_
    .private_segment_fixed_size: 0
    .sgpr_count:     21
    .sgpr_spill_count: 0
    .symbol:         _ZN9rocsparseL12ell2csr_fillILj256E21rocsparse_complex_numIdEilEEvT2_S3_S3_PKS3_PKT0_21rocsparse_index_base_PKT1_PS3_PS6_S9_.kd
    .uniform_work_group_size: 1
    .uses_dynamic_stack: false
    .vgpr_count:     15
    .vgpr_spill_count: 0
    .wavefront_size: 32
    .workgroup_processor_mode: 1
  - .args:
      - .offset:         0
        .size:           8
        .value_kind:     by_value
      - .offset:         8
        .size:           8
        .value_kind:     by_value
      - .offset:         16
        .size:           8
        .value_kind:     by_value
      - .actual_access:  read_only
        .address_space:  global
        .offset:         24
        .size:           8
        .value_kind:     global_buffer
      - .actual_access:  read_only
        .address_space:  global
        .offset:         32
        .size:           8
        .value_kind:     global_buffer
      - .offset:         40
        .size:           4
        .value_kind:     by_value
      - .actual_access:  read_only
        .address_space:  global
        .offset:         48
        .size:           8
        .value_kind:     global_buffer
      - .actual_access:  write_only
        .address_space:  global
        .offset:         56
        .size:           8
        .value_kind:     global_buffer
      - .actual_access:  write_only
        .address_space:  global
        .offset:         64
        .size:           8
        .value_kind:     global_buffer
      - .offset:         72
        .size:           4
        .value_kind:     by_value
    .group_segment_fixed_size: 0
    .kernarg_segment_align: 8
    .kernarg_segment_size: 76
    .language:       OpenCL C
    .language_version:
      - 2
      - 0
    .max_flat_workgroup_size: 256
    .name:           _ZN9rocsparseL12ell2csr_fillILj256EfllEEvT2_S1_S1_PKS1_PKT0_21rocsparse_index_base_PKT1_PS1_PS4_S7_
    .private_segment_fixed_size: 0
    .sgpr_count:     22
    .sgpr_spill_count: 0
    .symbol:         _ZN9rocsparseL12ell2csr_fillILj256EfllEEvT2_S1_S1_PKS1_PKT0_21rocsparse_index_base_PKT1_PS1_PS4_S7_.kd
    .uniform_work_group_size: 1
    .uses_dynamic_stack: false
    .vgpr_count:     15
    .vgpr_spill_count: 0
    .wavefront_size: 32
    .workgroup_processor_mode: 1
  - .args:
      - .offset:         0
        .size:           8
        .value_kind:     by_value
      - .offset:         8
        .size:           8
        .value_kind:     by_value
      - .offset:         16
        .size:           8
        .value_kind:     by_value
      - .actual_access:  read_only
        .address_space:  global
        .offset:         24
        .size:           8
        .value_kind:     global_buffer
      - .actual_access:  read_only
        .address_space:  global
        .offset:         32
        .size:           8
        .value_kind:     global_buffer
      - .offset:         40
        .size:           4
        .value_kind:     by_value
      - .actual_access:  read_only
        .address_space:  global
        .offset:         48
        .size:           8
        .value_kind:     global_buffer
      - .actual_access:  write_only
        .address_space:  global
        .offset:         56
        .size:           8
        .value_kind:     global_buffer
      - .actual_access:  write_only
        .address_space:  global
        .offset:         64
        .size:           8
        .value_kind:     global_buffer
      - .offset:         72
        .size:           4
        .value_kind:     by_value
    .group_segment_fixed_size: 0
    .kernarg_segment_align: 8
    .kernarg_segment_size: 76
    .language:       OpenCL C
    .language_version:
      - 2
      - 0
    .max_flat_workgroup_size: 256
    .name:           _ZN9rocsparseL12ell2csr_fillILj256E21rocsparse_complex_numIfEllEEvT2_S3_S3_PKS3_PKT0_21rocsparse_index_base_PKT1_PS3_PS6_S9_
    .private_segment_fixed_size: 0
    .sgpr_count:     22
    .sgpr_spill_count: 0
    .symbol:         _ZN9rocsparseL12ell2csr_fillILj256E21rocsparse_complex_numIfEllEEvT2_S3_S3_PKS3_PKT0_21rocsparse_index_base_PKT1_PS3_PS6_S9_.kd
    .uniform_work_group_size: 1
    .uses_dynamic_stack: false
    .vgpr_count:     12
    .vgpr_spill_count: 0
    .wavefront_size: 32
    .workgroup_processor_mode: 1
  - .args:
      - .offset:         0
        .size:           8
        .value_kind:     by_value
      - .offset:         8
        .size:           8
        .value_kind:     by_value
      - .offset:         16
        .size:           8
        .value_kind:     by_value
      - .actual_access:  read_only
        .address_space:  global
        .offset:         24
        .size:           8
        .value_kind:     global_buffer
      - .actual_access:  read_only
        .address_space:  global
        .offset:         32
        .size:           8
        .value_kind:     global_buffer
      - .offset:         40
        .size:           4
        .value_kind:     by_value
      - .actual_access:  read_only
        .address_space:  global
        .offset:         48
        .size:           8
        .value_kind:     global_buffer
      - .actual_access:  write_only
        .address_space:  global
        .offset:         56
        .size:           8
        .value_kind:     global_buffer
      - .actual_access:  write_only
        .address_space:  global
        .offset:         64
        .size:           8
        .value_kind:     global_buffer
      - .offset:         72
        .size:           4
        .value_kind:     by_value
    .group_segment_fixed_size: 0
    .kernarg_segment_align: 8
    .kernarg_segment_size: 76
    .language:       OpenCL C
    .language_version:
      - 2
      - 0
    .max_flat_workgroup_size: 256
    .name:           _ZN9rocsparseL12ell2csr_fillILj256EdllEEvT2_S1_S1_PKS1_PKT0_21rocsparse_index_base_PKT1_PS1_PS4_S7_
    .private_segment_fixed_size: 0
    .sgpr_count:     22
    .sgpr_spill_count: 0
    .symbol:         _ZN9rocsparseL12ell2csr_fillILj256EdllEEvT2_S1_S1_PKS1_PKT0_21rocsparse_index_base_PKT1_PS1_PS4_S7_.kd
    .uniform_work_group_size: 1
    .uses_dynamic_stack: false
    .vgpr_count:     12
    .vgpr_spill_count: 0
    .wavefront_size: 32
    .workgroup_processor_mode: 1
  - .args:
      - .offset:         0
        .size:           8
        .value_kind:     by_value
      - .offset:         8
        .size:           8
        .value_kind:     by_value
      - .offset:         16
        .size:           8
        .value_kind:     by_value
      - .actual_access:  read_only
        .address_space:  global
        .offset:         24
        .size:           8
        .value_kind:     global_buffer
      - .actual_access:  read_only
        .address_space:  global
        .offset:         32
        .size:           8
        .value_kind:     global_buffer
      - .offset:         40
        .size:           4
        .value_kind:     by_value
      - .actual_access:  read_only
        .address_space:  global
        .offset:         48
        .size:           8
        .value_kind:     global_buffer
      - .actual_access:  write_only
        .address_space:  global
        .offset:         56
        .size:           8
        .value_kind:     global_buffer
      - .actual_access:  write_only
        .address_space:  global
        .offset:         64
        .size:           8
        .value_kind:     global_buffer
      - .offset:         72
        .size:           4
        .value_kind:     by_value
    .group_segment_fixed_size: 0
    .kernarg_segment_align: 8
    .kernarg_segment_size: 76
    .language:       OpenCL C
    .language_version:
      - 2
      - 0
    .max_flat_workgroup_size: 256
    .name:           _ZN9rocsparseL12ell2csr_fillILj256E21rocsparse_complex_numIdEllEEvT2_S3_S3_PKS3_PKT0_21rocsparse_index_base_PKT1_PS3_PS6_S9_
    .private_segment_fixed_size: 0
    .sgpr_count:     22
    .sgpr_spill_count: 0
    .symbol:         _ZN9rocsparseL12ell2csr_fillILj256E21rocsparse_complex_numIdEllEEvT2_S3_S3_PKS3_PKT0_21rocsparse_index_base_PKT1_PS3_PS6_S9_.kd
    .uniform_work_group_size: 1
    .uses_dynamic_stack: false
    .vgpr_count:     18
    .vgpr_spill_count: 0
    .wavefront_size: 32
    .workgroup_processor_mode: 1
  - .args:
      - .offset:         0
        .size:           4
        .value_kind:     by_value
      - .offset:         4
        .size:           4
        .value_kind:     by_value
      - .offset:         8
        .size:           4
        .value_kind:     by_value
      - .actual_access:  read_only
        .address_space:  global
        .offset:         16
        .size:           8
        .value_kind:     global_buffer
      - .offset:         24
        .size:           4
        .value_kind:     by_value
      - .actual_access:  write_only
        .address_space:  global
        .offset:         32
        .size:           8
        .value_kind:     global_buffer
      - .offset:         40
        .size:           4
        .value_kind:     by_value
    .group_segment_fixed_size: 0
    .kernarg_segment_align: 8
    .kernarg_segment_size: 44
    .language:       OpenCL C
    .language_version:
      - 2
      - 0
    .max_flat_workgroup_size: 256
    .name:           _ZN9rocsparseL19ell2csr_nnz_per_rowILj256EiiEEvT1_S1_S1_PKS1_21rocsparse_index_base_PT0_S4_
    .private_segment_fixed_size: 0
    .sgpr_count:     18
    .sgpr_spill_count: 0
    .symbol:         _ZN9rocsparseL19ell2csr_nnz_per_rowILj256EiiEEvT1_S1_S1_PKS1_21rocsparse_index_base_PT0_S4_.kd
    .uniform_work_group_size: 1
    .uses_dynamic_stack: false
    .vgpr_count:     4
    .vgpr_spill_count: 0
    .wavefront_size: 32
    .workgroup_processor_mode: 1
  - .args:
      - .address_space:  global
        .offset:         0
        .size:           8
        .value_kind:     global_buffer
    .group_segment_fixed_size: 0
    .kernarg_segment_align: 8
    .kernarg_segment_size: 8
    .language:       OpenCL C
    .language_version:
      - 2
      - 0
    .max_flat_workgroup_size: 1
    .name:           _ZN9rocsparseL18ell2csr_index_baseILj1EiEEvPT0_
    .private_segment_fixed_size: 0
    .sgpr_count:     3
    .sgpr_spill_count: 0
    .symbol:         _ZN9rocsparseL18ell2csr_index_baseILj1EiEEvPT0_.kd
    .uniform_work_group_size: 1
    .uses_dynamic_stack: false
    .vgpr_count:     2
    .vgpr_spill_count: 0
    .wavefront_size: 32
    .workgroup_processor_mode: 1
  - .args:
      - .offset:         0
        .size:           4
        .value_kind:     by_value
      - .offset:         4
        .size:           4
        .value_kind:     by_value
      - .offset:         8
        .size:           4
        .value_kind:     by_value
      - .actual_access:  read_only
        .address_space:  global
        .offset:         16
        .size:           8
        .value_kind:     global_buffer
      - .offset:         24
        .size:           4
        .value_kind:     by_value
      - .actual_access:  write_only
        .address_space:  global
        .offset:         32
        .size:           8
        .value_kind:     global_buffer
      - .offset:         40
        .size:           4
        .value_kind:     by_value
    .group_segment_fixed_size: 0
    .kernarg_segment_align: 8
    .kernarg_segment_size: 44
    .language:       OpenCL C
    .language_version:
      - 2
      - 0
    .max_flat_workgroup_size: 256
    .name:           _ZN9rocsparseL19ell2csr_nnz_per_rowILj256EliEEvT1_S1_S1_PKS1_21rocsparse_index_base_PT0_S4_
    .private_segment_fixed_size: 0
    .sgpr_count:     18
    .sgpr_spill_count: 0
    .symbol:         _ZN9rocsparseL19ell2csr_nnz_per_rowILj256EliEEvT1_S1_S1_PKS1_21rocsparse_index_base_PT0_S4_.kd
    .uniform_work_group_size: 1
    .uses_dynamic_stack: false
    .vgpr_count:     4
    .vgpr_spill_count: 0
    .wavefront_size: 32
    .workgroup_processor_mode: 1
  - .args:
      - .address_space:  global
        .offset:         0
        .size:           8
        .value_kind:     global_buffer
    .group_segment_fixed_size: 0
    .kernarg_segment_align: 8
    .kernarg_segment_size: 8
    .language:       OpenCL C
    .language_version:
      - 2
      - 0
    .max_flat_workgroup_size: 1
    .name:           _ZN9rocsparseL18ell2csr_index_baseILj1ElEEvPT0_
    .private_segment_fixed_size: 0
    .sgpr_count:     4
    .sgpr_spill_count: 0
    .symbol:         _ZN9rocsparseL18ell2csr_index_baseILj1ElEEvPT0_.kd
    .uniform_work_group_size: 1
    .uses_dynamic_stack: false
    .vgpr_count:     3
    .vgpr_spill_count: 0
    .wavefront_size: 32
    .workgroup_processor_mode: 1
  - .args:
      - .offset:         0
        .size:           8
        .value_kind:     by_value
      - .offset:         8
        .size:           8
        .value_kind:     by_value
      - .offset:         16
        .size:           8
        .value_kind:     by_value
      - .actual_access:  read_only
        .address_space:  global
        .offset:         24
        .size:           8
        .value_kind:     global_buffer
      - .offset:         32
        .size:           4
        .value_kind:     by_value
      - .actual_access:  write_only
        .address_space:  global
        .offset:         40
        .size:           8
        .value_kind:     global_buffer
      - .offset:         48
        .size:           4
        .value_kind:     by_value
    .group_segment_fixed_size: 0
    .kernarg_segment_align: 8
    .kernarg_segment_size: 52
    .language:       OpenCL C
    .language_version:
      - 2
      - 0
    .max_flat_workgroup_size: 256
    .name:           _ZN9rocsparseL19ell2csr_nnz_per_rowILj256EilEEvT1_S1_S1_PKS1_21rocsparse_index_base_PT0_S4_
    .private_segment_fixed_size: 0
    .sgpr_count:     18
    .sgpr_spill_count: 0
    .symbol:         _ZN9rocsparseL19ell2csr_nnz_per_rowILj256EilEEvT1_S1_S1_PKS1_21rocsparse_index_base_PT0_S4_.kd
    .uniform_work_group_size: 1
    .uses_dynamic_stack: false
    .vgpr_count:     7
    .vgpr_spill_count: 0
    .wavefront_size: 32
    .workgroup_processor_mode: 1
  - .args:
      - .offset:         0
        .size:           8
        .value_kind:     by_value
      - .offset:         8
        .size:           8
        .value_kind:     by_value
      - .offset:         16
        .size:           8
        .value_kind:     by_value
      - .actual_access:  read_only
        .address_space:  global
        .offset:         24
        .size:           8
        .value_kind:     global_buffer
      - .offset:         32
        .size:           4
        .value_kind:     by_value
      - .actual_access:  write_only
        .address_space:  global
        .offset:         40
        .size:           8
        .value_kind:     global_buffer
      - .offset:         48
        .size:           4
        .value_kind:     by_value
    .group_segment_fixed_size: 0
    .kernarg_segment_align: 8
    .kernarg_segment_size: 52
    .language:       OpenCL C
    .language_version:
      - 2
      - 0
    .max_flat_workgroup_size: 256
    .name:           _ZN9rocsparseL19ell2csr_nnz_per_rowILj256EllEEvT1_S1_S1_PKS1_21rocsparse_index_base_PT0_S4_
    .private_segment_fixed_size: 0
    .sgpr_count:     18
    .sgpr_spill_count: 0
    .symbol:         _ZN9rocsparseL19ell2csr_nnz_per_rowILj256EllEEvT1_S1_S1_PKS1_21rocsparse_index_base_PT0_S4_.kd
    .uniform_work_group_size: 1
    .uses_dynamic_stack: false
    .vgpr_count:     6
    .vgpr_spill_count: 0
    .wavefront_size: 32
    .workgroup_processor_mode: 1
amdhsa.target:   amdgcn-amd-amdhsa--gfx1100
amdhsa.version:
  - 1
  - 2
...

	.end_amdgpu_metadata
